;; amdgpu-corpus repo=ROCm/hip-tests kind=compiled arch=gfx90a opt=O3
	.text
	.amdgcn_target "amdgcn-amd-amdhsa--gfx90a"
	.amdhsa_code_object_version 6
	.section	.text._Z6kernelIfEvPSt7complexIT_ES3_S3_8CalcKind,"axG",@progbits,_Z6kernelIfEvPSt7complexIT_ES3_S3_8CalcKind,comdat
	.protected	_Z6kernelIfEvPSt7complexIT_ES3_S3_8CalcKind ; -- Begin function _Z6kernelIfEvPSt7complexIT_ES3_S3_8CalcKind
	.globl	_Z6kernelIfEvPSt7complexIT_ES3_S3_8CalcKind
	.p2align	8
	.type	_Z6kernelIfEvPSt7complexIT_ES3_S3_8CalcKind,@function
_Z6kernelIfEvPSt7complexIT_ES3_S3_8CalcKind: ; @_Z6kernelIfEvPSt7complexIT_ES3_S3_8CalcKind
; %bb.0:
	s_load_dword s0, s[4:5], 0x2c
	s_load_dwordx4 s[8:11], s[4:5], 0x0
	s_load_dwordx2 s[12:13], s[4:5], 0x10
	s_load_dword s18, s[4:5], 0x18
	s_waitcnt lgkmcnt(0)
	s_and_b32 s0, s0, 0xffff
	s_mul_i32 s6, s6, s0
	v_add_u32_e32 v0, s6, v0
	v_ashrrev_i32_e32 v1, 31, v0
	v_lshlrev_b64 v[0:1], 3, v[0:1]
	v_mov_b32_e32 v3, s9
	v_add_co_u32_e32 v2, vcc, s8, v0
	v_addc_co_u32_e32 v3, vcc, v3, v1, vcc
	global_load_dwordx2 v[2:3], v[2:3], off
	s_cmp_lt_i32 s18, 4
	s_cbranch_scc1 .LBB0_6
; %bb.1:
	s_cmp_lt_i32 s18, 6
	s_cbranch_scc1 .LBB0_7
; %bb.2:
	;; [unrolled: 3-line block ×3, first 2 shown]
	s_cmp_eq_u32 s18, 7
	s_waitcnt vmcnt(0)
	v_mov_b32_e32 v5, v3
	v_mov_b32_e32 v4, v2
	s_cbranch_scc0 .LBB0_9
; %bb.4:
	v_and_b32_e32 v6, 0x7fffffff, v2
	s_brev_b32 s0, 18
	v_cmp_nlt_f32_e64 s[6:7], |v2|, s0
	v_lshrrev_b32_e32 v9, 23, v6
                                        ; implicit-def: $vgpr5
                                        ; implicit-def: $vgpr4
	s_and_saveexec_b64 s[0:1], s[6:7]
	s_xor_b64 s[8:9], exec, s[0:1]
	s_cbranch_execz .LBB0_10
; %bb.5:
	v_add_u32_e32 v4, 0xffffff88, v9
	v_not_b32_e32 v7, 63
	v_cmp_lt_u32_e32 vcc, 63, v4
	v_cndmask_b32_e32 v7, 0, v7, vcc
	v_add_u32_e32 v4, v7, v4
	v_not_b32_e32 v7, 31
	v_cmp_lt_u32_e64 s[0:1], 31, v4
	v_cndmask_b32_e64 v8, 0, v7, s[0:1]
	v_add_u32_e32 v4, v8, v4
	v_cmp_lt_u32_e64 s[2:3], 31, v4
	v_cndmask_b32_e64 v7, 0, v7, s[2:3]
	v_add_u32_e32 v7, v7, v4
	v_and_b32_e32 v4, 0x7fffff, v6
	v_or_b32_e32 v8, 0x800000, v4
	s_mov_b32 s4, 0xfe5163ab
	v_mad_u64_u32 v[10:11], s[4:5], v8, s4, 0
	v_mov_b32_e32 v5, 0
	v_mov_b32_e32 v4, v11
	s_mov_b32 s4, 0x3c439041
	v_mad_u64_u32 v[12:13], s[4:5], v8, s4, v[4:5]
	v_mov_b32_e32 v4, v13
	s_mov_b32 s4, 0xdb629599
	v_mad_u64_u32 v[14:15], s[4:5], v8, s4, v[4:5]
	;; [unrolled: 3-line block ×6, first 2 shown]
	v_cndmask_b32_e32 v11, v20, v16, vcc
	v_cndmask_b32_e32 v4, v4, v18, vcc
	;; [unrolled: 1-line block ×3, first 2 shown]
	v_cndmask_b32_e64 v8, v4, v11, s[0:1]
	v_cndmask_b32_e64 v4, v5, v4, s[0:1]
	v_cndmask_b32_e32 v5, v18, v14, vcc
	v_cndmask_b32_e64 v11, v11, v5, s[0:1]
	v_cndmask_b32_e64 v4, v4, v8, s[2:3]
	;; [unrolled: 1-line block ×3, first 2 shown]
	v_sub_u32_e32 v13, 32, v7
	v_alignbit_b32 v15, v4, v8, v13
	v_cmp_eq_u32_e64 s[4:5], 0, v7
	v_cndmask_b32_e64 v7, v15, v4, s[4:5]
	v_cndmask_b32_e32 v4, v16, v12, vcc
	v_cndmask_b32_e64 v5, v5, v4, s[0:1]
	v_cndmask_b32_e64 v11, v11, v5, s[2:3]
	v_alignbit_b32 v12, v8, v11, v13
	v_cndmask_b32_e64 v8, v12, v8, s[4:5]
	v_bfe_u32 v16, v7, 29, 1
	v_cndmask_b32_e32 v10, v14, v10, vcc
	v_alignbit_b32 v12, v7, v8, 30
	v_sub_u32_e32 v17, 0, v16
	v_cndmask_b32_e64 v4, v4, v10, s[0:1]
	v_xor_b32_e32 v18, v12, v17
	v_cndmask_b32_e64 v4, v5, v4, s[2:3]
	v_alignbit_b32 v5, v11, v4, v13
	v_ffbh_u32_e32 v10, v18
	v_cndmask_b32_e64 v5, v5, v11, s[4:5]
	v_add_u32_e32 v10, 1, v10
	v_cmp_ne_u32_e32 vcc, v12, v17
	v_alignbit_b32 v8, v8, v5, 30
	v_cndmask_b32_e32 v10, 33, v10, vcc
	v_alignbit_b32 v4, v5, v4, 30
	v_xor_b32_e32 v8, v8, v17
	v_sub_u32_e32 v11, 32, v10
	v_xor_b32_e32 v4, v4, v17
	v_alignbit_b32 v12, v18, v8, v11
	v_alignbit_b32 v4, v8, v4, v11
	;; [unrolled: 1-line block ×3, first 2 shown]
	v_ffbh_u32_e32 v8, v5
	v_min_u32_e32 v8, 32, v8
	v_lshrrev_b32_e32 v15, 29, v7
	v_sub_u32_e32 v11, 31, v8
	v_alignbit_b32 v4, v5, v4, v11
	v_lshlrev_b32_e32 v5, 31, v15
	v_or_b32_e32 v11, 0x33800000, v5
	v_add_lshl_u32 v8, v8, v10, 23
	v_lshrrev_b32_e32 v4, 9, v4
	v_sub_u32_e32 v8, v11, v8
	v_or_b32_e32 v4, v8, v4
	v_alignbit_b32 v8, v10, v12, 9
	v_or_b32_e32 v5, v8, v5
	v_xor_b32_e32 v5, 1.0, v5
	s_mov_b32 s0, 0x3fc90fda
	v_mul_f32_e32 v8, 0x3fc90fda, v5
	v_fma_f32 v10, v5, s0, -v8
	v_fmac_f32_e32 v10, 0x33a22168, v5
	v_fmac_f32_e32 v10, 0x3fc90fda, v4
	v_lshrrev_b32_e32 v5, 30, v7
	v_add_f32_e32 v4, v8, v10
	v_add_u32_e32 v5, v16, v5
	s_andn2_saveexec_b64 s[0:1], s[8:9]
	s_branch .LBB0_11
.LBB0_6:
                                        ; implicit-def: $vgpr5
	s_branch .LBB0_35
.LBB0_7:
                                        ; implicit-def: $vgpr5
	s_branch .LBB0_27
.LBB0_8:
                                        ; implicit-def: $vgpr5
	s_branch .LBB0_17
.LBB0_9:
	s_cbranch_execnz .LBB0_26
	s_branch .LBB0_17
.LBB0_10:
	s_andn2_saveexec_b64 s[0:1], s[8:9]
.LBB0_11:
	s_mov_b32 s2, 0x3f22f983
	v_mul_f32_e64 v4, |v2|, s2
	v_rndne_f32_e32 v7, v4
	s_mov_b32 s2, 0xbfc90fda
	v_cvt_i32_f32_e32 v5, v7
	v_fma_f32 v4, v7, s2, |v2|
	v_fmac_f32_e32 v4, 0xb3a22168, v7
	v_fmac_f32_e32 v4, 0xa7c234c4, v7
; %bb.12:
	s_or_b64 exec, exec, s[0:1]
                                        ; implicit-def: $vgpr7
                                        ; implicit-def: $vgpr8
	s_and_saveexec_b64 s[0:1], s[6:7]
	s_xor_b64 s[6:7], exec, s[0:1]
	s_cbranch_execz .LBB0_14
; %bb.13:
	v_add_u32_e32 v7, 0xffffff88, v9
	v_not_b32_e32 v8, 63
	v_cmp_lt_u32_e32 vcc, 63, v7
	v_cndmask_b32_e32 v8, 0, v8, vcc
	v_add_u32_e32 v7, v8, v7
	v_not_b32_e32 v8, 31
	v_cmp_lt_u32_e64 s[0:1], 31, v7
	v_cndmask_b32_e64 v10, 0, v8, s[0:1]
	v_add_u32_e32 v7, v10, v7
	v_cmp_lt_u32_e64 s[2:3], 31, v7
	v_cndmask_b32_e64 v8, 0, v8, s[2:3]
	v_add_u32_e32 v7, v8, v7
	v_and_b32_e32 v8, 0x7fffff, v6
	v_or_b32_e32 v22, 0x800000, v8
	s_mov_b32 s4, 0xfe5163ab
	v_mad_u64_u32 v[10:11], s[4:5], v22, s4, 0
	v_mov_b32_e32 v9, 0
	v_mov_b32_e32 v8, v11
	s_mov_b32 s4, 0x3c439041
	v_mad_u64_u32 v[12:13], s[4:5], v22, s4, v[8:9]
	v_mov_b32_e32 v8, v13
	s_mov_b32 s4, 0xdb629599
	v_mad_u64_u32 v[14:15], s[4:5], v22, s4, v[8:9]
	;; [unrolled: 3-line block ×6, first 2 shown]
	v_cndmask_b32_e32 v11, v20, v16, vcc
	v_cndmask_b32_e32 v8, v8, v18, vcc
	;; [unrolled: 1-line block ×3, first 2 shown]
	v_cndmask_b32_e64 v13, v8, v11, s[0:1]
	v_cndmask_b32_e64 v8, v9, v8, s[0:1]
	v_cndmask_b32_e32 v9, v18, v14, vcc
	v_cndmask_b32_e64 v11, v11, v9, s[0:1]
	v_cndmask_b32_e64 v8, v8, v13, s[2:3]
	v_cndmask_b32_e64 v13, v13, v11, s[2:3]
	v_sub_u32_e32 v15, 32, v7
	v_alignbit_b32 v17, v8, v13, v15
	v_cmp_eq_u32_e64 s[4:5], 0, v7
	v_cndmask_b32_e64 v7, v17, v8, s[4:5]
	v_cndmask_b32_e32 v8, v16, v12, vcc
	v_cndmask_b32_e64 v9, v9, v8, s[0:1]
	v_cndmask_b32_e64 v11, v11, v9, s[2:3]
	v_alignbit_b32 v12, v13, v11, v15
	v_cndmask_b32_e32 v10, v14, v10, vcc
	v_cndmask_b32_e64 v12, v12, v13, s[4:5]
	v_bfe_u32 v17, v7, 29, 1
	v_cndmask_b32_e64 v8, v8, v10, s[0:1]
	v_alignbit_b32 v13, v7, v12, 30
	v_sub_u32_e32 v18, 0, v17
	v_cndmask_b32_e64 v8, v9, v8, s[2:3]
	v_xor_b32_e32 v19, v13, v18
	v_alignbit_b32 v9, v11, v8, v15
	v_cndmask_b32_e64 v9, v9, v11, s[4:5]
	v_ffbh_u32_e32 v11, v19
	v_add_u32_e32 v11, 1, v11
	v_cmp_ne_u32_e32 vcc, v13, v18
	v_alignbit_b32 v10, v12, v9, 30
	v_cndmask_b32_e32 v11, 33, v11, vcc
	v_alignbit_b32 v8, v9, v8, 30
	v_xor_b32_e32 v10, v10, v18
	v_sub_u32_e32 v12, 32, v11
	v_xor_b32_e32 v8, v8, v18
	v_alignbit_b32 v13, v19, v10, v12
	v_alignbit_b32 v8, v10, v8, v12
	;; [unrolled: 1-line block ×3, first 2 shown]
	v_ffbh_u32_e32 v10, v9
	v_min_u32_e32 v10, 32, v10
	v_lshrrev_b32_e32 v16, 29, v7
	v_sub_u32_e32 v12, 31, v10
	v_alignbit_b32 v8, v9, v8, v12
	v_lshlrev_b32_e32 v9, 31, v16
	v_or_b32_e32 v12, 0x33800000, v9
	v_add_lshl_u32 v10, v10, v11, 23
	v_lshrrev_b32_e32 v8, 9, v8
	v_sub_u32_e32 v10, v12, v10
	v_or_b32_e32 v8, v10, v8
	v_alignbit_b32 v10, v11, v13, 9
	v_or_b32_e32 v9, v10, v9
	v_xor_b32_e32 v9, 1.0, v9
	s_mov_b32 s0, 0x3fc90fda
	v_mul_f32_e32 v10, 0x3fc90fda, v9
	v_fma_f32 v11, v9, s0, -v10
	v_fmac_f32_e32 v11, 0x33a22168, v9
	v_fmac_f32_e32 v11, 0x3fc90fda, v8
	v_lshrrev_b32_e32 v7, 30, v7
	v_add_f32_e32 v8, v10, v11
	v_add_u32_e32 v7, v17, v7
	s_andn2_saveexec_b64 s[0:1], s[6:7]
	s_cbranch_execnz .LBB0_15
	s_branch .LBB0_16
.LBB0_14:
	s_andn2_saveexec_b64 s[0:1], s[6:7]
.LBB0_15:
	s_mov_b32 s2, 0x3f22f983
	v_mul_f32_e64 v7, |v2|, s2
	v_rndne_f32_e32 v9, v7
	s_mov_b32 s2, 0xbfc90fda
	v_cvt_i32_f32_e32 v7, v9
	v_fma_f32 v8, v9, s2, |v2|
	v_fmac_f32_e32 v8, 0xb3a22168, v9
	v_fmac_f32_e32 v8, 0xa7c234c4, v9
.LBB0_16:
	s_or_b64 exec, exec, s[0:1]
	v_lshlrev_b32_e32 v9, 30, v5
	v_and_b32_e32 v10, 1, v5
	v_mul_f32_e32 v11, v4, v4
	v_mov_b32_e32 v5, 0xbab64f3b
	v_fmac_f32_e32 v5, 0x37d75334, v11
	v_mov_b32_e32 v19, 0x3d2aabf7
	v_mov_b32_e32 v13, 0x3c0881c4
	v_fma_f32 v5, v11, v5, v19
	v_mov_b32_e32 v20, 0xbf000004
	v_fmac_f32_e32 v13, 0xb94c1982, v11
	v_mov_b32_e32 v22, 0xbe2aaa9d
	v_fma_f32 v12, v11, v5, v20
	v_fma_f32 v13, v11, v13, v22
	s_mov_b32 s1, 0xbf317218
	v_fma_f32 v12, v11, v12, 1.0
	v_mul_f32_e32 v11, v11, v13
	v_add_f32_e64 v14, |v3|, s1
	v_fmac_f32_e32 v4, v4, v11
	v_cmp_eq_u32_e32 vcc, 0, v10
	v_sub_f32_e64 v13, v14, |v3|
	v_cndmask_b32_e64 v4, -v4, v12, vcc
	v_and_b32_e32 v10, 0x7fffffff, v3
	v_sub_f32_e32 v12, v13, v14
	v_mov_b32_e32 v11, 0x3f317218
	v_pk_add_f32 v[10:11], v[10:11], v[12:13]
	v_sub_f32_e32 v10, v10, v11
	v_add_f32_e32 v10, 0x3102e308, v10
	v_add_f32_e32 v11, v14, v10
	v_sub_f32_e32 v12, v14, v11
	v_add_f32_e32 v10, v10, v12
	v_mul_f32_e32 v12, 0x3fb8aa3b, v11
	v_rndne_f32_e32 v23, v12
	v_fmac_f32_e32 v11, 0xbf317200, v23
	v_add_f32_e32 v13, v10, v11
	v_mul_f32_e32 v14, 0x35bfbc00, v23
	v_sub_f32_e32 v12, v13, v14
	v_sub_f32_e32 v11, v11, v13
	;; [unrolled: 1-line block ×3, first 2 shown]
	v_add_f32_e32 v10, v10, v11
	v_sub_f32_e32 v13, v13, v14
	v_add_f32_e32 v16, v10, v13
	v_add_f32_e32 v13, v12, v16
	v_mul_f32_e32 v11, 0x2ea39ef3, v23
	v_mov_b32_e32 v10, v13
	v_pk_add_f32 v[14:15], v[12:13], v[10:11] neg_lo:[0,1] neg_hi:[0,1]
	v_sub_f32_e32 v10, v13, v15
	v_sub_f32_e32 v10, v10, v11
	v_add_f32_e32 v11, v16, v14
	v_add_f32_e32 v10, v11, v10
	;; [unrolled: 1-line block ×3, first 2 shown]
	v_mov_b32_e32 v12, 0x3c091de6
	v_fmac_f32_e32 v12, 0x3ab42872, v11
	v_mov_b32_e32 v13, 0x3d2aadcc
	v_fmac_f32_e32 v13, v11, v12
	;; [unrolled: 2-line block ×3, first 2 shown]
	v_mov_b32_e32 v13, 0x3efffffc
	v_sub_f32_e32 v14, v15, v11
	v_fmac_f32_e32 v13, v11, v12
	v_mul_f32_e32 v12, v11, v11
	v_add_f32_e32 v14, v10, v14
	v_add_f32_e32 v10, v14, v14
	v_fma_f32 v15, v11, v11, -v12
	v_fmac_f32_e32 v15, v11, v10
	v_add_f32_e32 v10, v12, v15
	v_mul_f32_e32 v16, v13, v10
	v_sub_f32_e32 v12, v10, v12
	v_sub_f32_e32 v12, v15, v12
	v_fma_f32 v15, v10, v13, -v16
	v_fmac_f32_e32 v15, v12, v13
	v_add_f32_e32 v12, v16, v15
	v_add_f32_e32 v10, v11, v12
	v_sub_f32_e32 v13, v12, v16
	v_sub_f32_e32 v13, v15, v13
	;; [unrolled: 1-line block ×3, first 2 shown]
	v_add_f32_e32 v13, v14, v13
	v_sub_f32_e32 v11, v12, v11
	v_add_f32_e32 v12, v13, v11
	v_add_f32_e32 v14, v10, v12
	s_movk_i32 s0, 0x1f8
	v_add_f32_e32 v15, 1.0, v14
	s_mov_b32 s1, -1.0
	v_mov_b32_e32 v11, -1.0
	v_pk_add_f32 v[10:11], v[14:15], v[10:11] neg_lo:[0,1] neg_hi:[0,1]
	v_pk_add_f32 v[16:17], v[14:15], s[0:1]
	v_mov_b32_e32 v11, v17
	v_mov_b32_e32 v13, v14
	v_cvt_i32_f32_e32 v14, v23
	v_pk_add_f32 v[10:11], v[12:13], v[10:11] neg_lo:[0,1] neg_hi:[0,1]
	v_add_f32_e32 v11, v10, v11
	v_add_f32_e32 v12, v15, v11
	v_ldexp_f32 v16, v12, v14
	v_rcp_f32_e32 v17, v16
	v_and_b32_e32 v9, 0x80000000, v9
	v_xor_b32_e32 v4, v9, v4
	v_mov_b32_e32 v9, 0x7fc00000
	v_cmp_class_f32_e64 vcc, v2, s0
	v_cndmask_b32_e32 v9, v9, v4, vcc
	v_sub_f32_e32 v4, v12, v15
	v_mul_f32_e32 v10, v16, v17
	v_sub_f32_e32 v4, v11, v4
	v_ldexp_f32 v23, v4, v14
	v_fma_f32 v12, v17, v16, -v10
	v_fmac_f32_e32 v12, v17, v23
	v_add_f32_e32 v4, v10, v12
	v_mov_b32_e32 v5, 1.0
	v_sub_f32_e32 v11, 1.0, v4
	v_pk_add_f32 v[14:15], v[4:5], v[10:11] neg_lo:[0,1] neg_hi:[0,1]
	v_mov_b32_e32 v13, v4
	v_pk_add_f32 v[4:5], v[14:15], v[12:13] neg_lo:[0,1] neg_hi:[0,1]
	v_add_f32_e32 v14, v4, v5
	v_add_f32_e32 v5, v11, v14
	v_mul_f32_e32 v4, v17, v5
	v_add_f32_e32 v24, v17, v4
	v_sub_f32_e32 v10, v24, v17
	v_mul_f32_e32 v12, v16, v4
	v_sub_f32_e32 v25, v4, v10
	v_fma_f32 v10, v4, v16, -v12
	v_fmac_f32_e32 v10, v4, v23
	v_add_f32_e32 v4, v12, v10
	v_sub_f32_e32 v13, v5, v4
	v_sub_f32_e32 v11, v11, v5
	v_add_f32_e32 v26, v14, v11
	v_pk_add_f32 v[14:15], v[4:5], v[12:13] neg_lo:[0,1] neg_hi:[0,1]
	v_mov_b32_e32 v11, v4
	v_pk_add_f32 v[4:5], v[14:15], v[10:11] neg_lo:[0,1] neg_hi:[0,1]
	v_add_f32_e32 v5, v26, v5
	v_add_f32_e32 v4, v4, v5
	;; [unrolled: 1-line block ×3, first 2 shown]
	v_mul_f32_e32 v4, v17, v4
	v_add_f32_e32 v4, v25, v4
	v_add_f32_e32 v5, v24, v4
	v_ldexp_f32 v10, v5, -2
	v_sub_f32_e32 v5, v5, v24
	v_add_f32_e32 v11, v16, v10
	v_sub_f32_e32 v4, v4, v5
	v_ldexp_f32 v5, v4, -2
	v_sub_f32_e32 v12, v11, v16
	v_add_f32_e32 v4, v23, v5
	v_sub_f32_e32 v12, v10, v12
	s_mov_b32 s0, 0x42b2d4fc
	v_add_f32_e32 v4, v4, v12
	v_add_f32_e32 v4, v11, v4
	v_mov_b32_e32 v11, 0x7f800000
	v_cmp_gt_f32_e64 s[0:1], |v3|, s0
	v_cndmask_b32_e64 v4, v4, v11, s[0:1]
	v_mov_b32_e32 v21, 0x3c0881c4
	v_mul_f32_e32 v4, v4, v9
	v_mul_f32_e32 v9, v8, v8
	v_mov_b32_e32 v18, 0xbab64f3b
	v_fmac_f32_e32 v21, 0xb94c1982, v9
	v_fmac_f32_e32 v22, v9, v21
	;; [unrolled: 1-line block ×3, first 2 shown]
	v_mul_f32_e32 v12, v9, v22
	v_fmac_f32_e32 v19, v9, v18
	v_fmac_f32_e32 v8, v8, v12
	;; [unrolled: 1-line block ×3, first 2 shown]
	v_and_b32_e32 v12, 1, v7
	v_lshlrev_b32_e32 v7, 30, v7
	v_fma_f32 v9, v9, v20, 1.0
	v_cmp_eq_u32_e64 s[2:3], 0, v12
	v_and_b32_e32 v7, 0x80000000, v7
	v_cndmask_b32_e64 v8, v9, v8, s[2:3]
	v_xor_b32_e32 v6, v6, v7
	v_xor_b32_e32 v6, v6, v8
	v_xor_b32_e32 v6, v6, v2
	v_mov_b32_e32 v7, 0xffc00000
	v_cndmask_b32_e64 v6, v7, -v6, vcc
	v_sub_f32_e32 v7, v16, v10
	v_sub_f32_e32 v8, v16, v7
	;; [unrolled: 1-line block ×3, first 2 shown]
	v_add_f32_e32 v8, v23, v8
	v_sub_f32_e32 v5, v8, v5
	v_add_f32_e32 v5, v7, v5
	v_cndmask_b32_e64 v5, v5, v11, s[0:1]
	s_mov_b32 s0, 0x39800000
	v_cmp_lt_f32_e64 s[0:1], |v3|, s0
	s_brev_b32 s4, -2
	v_cndmask_b32_e64 v5, v5, |v3|, s[0:1]
	v_bfi_b32 v5, s4, v5, v3
	v_mul_f32_e32 v5, v5, v6
	s_cbranch_execnz .LBB0_26
.LBB0_17:
	s_waitcnt vmcnt(0)
	v_and_b32_e32 v4, 0x7fffffff, v2
	s_brev_b32 s0, 18
	v_cmp_nlt_f32_e64 s[6:7], |v2|, s0
	v_lshrrev_b32_e32 v9, 23, v4
                                        ; implicit-def: $vgpr5
                                        ; implicit-def: $vgpr8
	s_and_saveexec_b64 s[0:1], s[6:7]
	s_xor_b64 s[8:9], exec, s[0:1]
	s_cbranch_execz .LBB0_19
; %bb.18:
	v_add_u32_e32 v5, 0xffffff88, v9
	v_not_b32_e32 v6, 63
	v_cmp_lt_u32_e32 vcc, 63, v5
	v_cndmask_b32_e32 v6, 0, v6, vcc
	v_add_u32_e32 v5, v6, v5
	v_not_b32_e32 v6, 31
	v_cmp_lt_u32_e64 s[0:1], 31, v5
	v_cndmask_b32_e64 v8, 0, v6, s[0:1]
	v_add_u32_e32 v5, v8, v5
	v_cmp_lt_u32_e64 s[2:3], 31, v5
	v_cndmask_b32_e64 v6, 0, v6, s[2:3]
	v_add_u32_e32 v5, v6, v5
	v_and_b32_e32 v6, 0x7fffff, v4
	v_or_b32_e32 v8, 0x800000, v6
	s_mov_b32 s4, 0xfe5163ab
	v_mad_u64_u32 v[10:11], s[4:5], v8, s4, 0
	v_mov_b32_e32 v7, 0
	v_mov_b32_e32 v6, v11
	s_mov_b32 s4, 0x3c439041
	v_mad_u64_u32 v[12:13], s[4:5], v8, s4, v[6:7]
	v_mov_b32_e32 v6, v13
	s_mov_b32 s4, 0xdb629599
	v_mad_u64_u32 v[14:15], s[4:5], v8, s4, v[6:7]
	;; [unrolled: 3-line block ×6, first 2 shown]
	v_cndmask_b32_e32 v11, v20, v16, vcc
	v_cndmask_b32_e32 v6, v6, v18, vcc
	;; [unrolled: 1-line block ×3, first 2 shown]
	v_cndmask_b32_e64 v8, v6, v11, s[0:1]
	v_cndmask_b32_e64 v6, v7, v6, s[0:1]
	v_cndmask_b32_e32 v7, v18, v14, vcc
	v_cndmask_b32_e64 v11, v11, v7, s[0:1]
	v_cndmask_b32_e64 v6, v6, v8, s[2:3]
	;; [unrolled: 1-line block ×3, first 2 shown]
	v_sub_u32_e32 v13, 32, v5
	v_alignbit_b32 v15, v6, v8, v13
	v_cmp_eq_u32_e64 s[4:5], 0, v5
	v_cndmask_b32_e64 v5, v15, v6, s[4:5]
	v_cndmask_b32_e32 v6, v16, v12, vcc
	v_cndmask_b32_e64 v7, v7, v6, s[0:1]
	v_cndmask_b32_e64 v11, v11, v7, s[2:3]
	v_alignbit_b32 v12, v8, v11, v13
	v_cndmask_b32_e64 v8, v12, v8, s[4:5]
	v_bfe_u32 v16, v5, 29, 1
	v_cndmask_b32_e32 v10, v14, v10, vcc
	v_alignbit_b32 v12, v5, v8, 30
	v_sub_u32_e32 v17, 0, v16
	v_cndmask_b32_e64 v6, v6, v10, s[0:1]
	v_xor_b32_e32 v18, v12, v17
	v_cndmask_b32_e64 v6, v7, v6, s[2:3]
	v_alignbit_b32 v7, v11, v6, v13
	v_ffbh_u32_e32 v10, v18
	v_cndmask_b32_e64 v7, v7, v11, s[4:5]
	v_add_u32_e32 v10, 1, v10
	v_cmp_ne_u32_e32 vcc, v12, v17
	v_alignbit_b32 v8, v8, v7, 30
	v_cndmask_b32_e32 v10, 33, v10, vcc
	v_alignbit_b32 v6, v7, v6, 30
	v_xor_b32_e32 v8, v8, v17
	v_sub_u32_e32 v11, 32, v10
	v_xor_b32_e32 v6, v6, v17
	v_alignbit_b32 v12, v18, v8, v11
	v_alignbit_b32 v6, v8, v6, v11
	;; [unrolled: 1-line block ×3, first 2 shown]
	v_ffbh_u32_e32 v8, v7
	v_min_u32_e32 v8, 32, v8
	v_lshrrev_b32_e32 v15, 29, v5
	v_sub_u32_e32 v11, 31, v8
	v_alignbit_b32 v6, v7, v6, v11
	v_lshlrev_b32_e32 v7, 31, v15
	v_or_b32_e32 v11, 0x33800000, v7
	v_add_lshl_u32 v8, v8, v10, 23
	v_lshrrev_b32_e32 v6, 9, v6
	v_sub_u32_e32 v8, v11, v8
	v_or_b32_e32 v6, v8, v6
	v_alignbit_b32 v8, v10, v12, 9
	v_or_b32_e32 v7, v8, v7
	v_xor_b32_e32 v7, 1.0, v7
	s_mov_b32 s0, 0x3fc90fda
	v_mul_f32_e32 v8, 0x3fc90fda, v7
	v_fma_f32 v10, v7, s0, -v8
	v_fmac_f32_e32 v10, 0x33a22168, v7
	v_fmac_f32_e32 v10, 0x3fc90fda, v6
	v_lshrrev_b32_e32 v5, 30, v5
	v_add_f32_e32 v8, v8, v10
	v_add_u32_e32 v5, v16, v5
	s_andn2_saveexec_b64 s[0:1], s[8:9]
	s_branch .LBB0_20
.LBB0_19:
	s_andn2_saveexec_b64 s[0:1], s[8:9]
.LBB0_20:
	s_mov_b32 s2, 0x3f22f983
	v_mul_f32_e64 v5, |v2|, s2
	v_rndne_f32_e32 v6, v5
	s_mov_b32 s2, 0xbfc90fda
	v_cvt_i32_f32_e32 v5, v6
	v_fma_f32 v8, v6, s2, |v2|
	v_fmac_f32_e32 v8, 0xb3a22168, v6
	v_fmac_f32_e32 v8, 0xa7c234c4, v6
; %bb.21:
	s_or_b64 exec, exec, s[0:1]
                                        ; implicit-def: $vgpr6
                                        ; implicit-def: $vgpr7
	s_and_saveexec_b64 s[0:1], s[6:7]
	s_xor_b64 s[6:7], exec, s[0:1]
	s_cbranch_execz .LBB0_23
; %bb.22:
	v_add_u32_e32 v6, 0xffffff88, v9
	v_not_b32_e32 v9, 63
	v_cmp_lt_u32_e32 vcc, 63, v6
	v_cndmask_b32_e32 v9, 0, v9, vcc
	v_add_u32_e32 v6, v9, v6
	v_not_b32_e32 v9, 31
	v_cmp_lt_u32_e64 s[0:1], 31, v6
	v_cndmask_b32_e64 v10, 0, v9, s[0:1]
	v_add_u32_e32 v6, v10, v6
	v_cmp_lt_u32_e64 s[2:3], 31, v6
	v_cndmask_b32_e64 v9, 0, v9, s[2:3]
	v_add_u32_e32 v9, v9, v6
	v_and_b32_e32 v6, 0x7fffff, v4
	v_or_b32_e32 v22, 0x800000, v6
	s_mov_b32 s4, 0xfe5163ab
	v_mad_u64_u32 v[10:11], s[4:5], v22, s4, 0
	v_mov_b32_e32 v7, 0
	v_mov_b32_e32 v6, v11
	s_mov_b32 s4, 0x3c439041
	v_mad_u64_u32 v[12:13], s[4:5], v22, s4, v[6:7]
	v_mov_b32_e32 v6, v13
	s_mov_b32 s4, 0xdb629599
	v_mad_u64_u32 v[14:15], s[4:5], v22, s4, v[6:7]
	;; [unrolled: 3-line block ×6, first 2 shown]
	v_cndmask_b32_e32 v11, v20, v16, vcc
	v_cndmask_b32_e32 v6, v6, v18, vcc
	;; [unrolled: 1-line block ×3, first 2 shown]
	v_cndmask_b32_e64 v13, v6, v11, s[0:1]
	v_cndmask_b32_e64 v6, v7, v6, s[0:1]
	v_cndmask_b32_e32 v7, v18, v14, vcc
	v_cndmask_b32_e64 v11, v11, v7, s[0:1]
	v_sub_u32_e32 v15, 32, v9
	v_cmp_eq_u32_e64 s[4:5], 0, v9
	v_cndmask_b32_e32 v9, v16, v12, vcc
	v_cndmask_b32_e64 v6, v6, v13, s[2:3]
	v_cndmask_b32_e64 v13, v13, v11, s[2:3]
	;; [unrolled: 1-line block ×3, first 2 shown]
	v_alignbit_b32 v17, v6, v13, v15
	v_cndmask_b32_e64 v11, v11, v7, s[2:3]
	v_cndmask_b32_e64 v6, v17, v6, s[4:5]
	v_alignbit_b32 v12, v13, v11, v15
	v_cndmask_b32_e32 v10, v14, v10, vcc
	v_cndmask_b32_e64 v12, v12, v13, s[4:5]
	v_bfe_u32 v17, v6, 29, 1
	v_cndmask_b32_e64 v9, v9, v10, s[0:1]
	v_alignbit_b32 v13, v6, v12, 30
	v_sub_u32_e32 v18, 0, v17
	v_cndmask_b32_e64 v7, v7, v9, s[2:3]
	v_xor_b32_e32 v19, v13, v18
	v_alignbit_b32 v9, v11, v7, v15
	v_cndmask_b32_e64 v9, v9, v11, s[4:5]
	v_ffbh_u32_e32 v11, v19
	v_add_u32_e32 v11, 1, v11
	v_cmp_ne_u32_e32 vcc, v13, v18
	v_alignbit_b32 v10, v12, v9, 30
	v_cndmask_b32_e32 v11, 33, v11, vcc
	v_alignbit_b32 v7, v9, v7, 30
	v_xor_b32_e32 v10, v10, v18
	v_sub_u32_e32 v12, 32, v11
	v_xor_b32_e32 v7, v7, v18
	v_alignbit_b32 v13, v19, v10, v12
	v_alignbit_b32 v7, v10, v7, v12
	;; [unrolled: 1-line block ×3, first 2 shown]
	v_ffbh_u32_e32 v10, v9
	v_min_u32_e32 v10, 32, v10
	v_lshrrev_b32_e32 v16, 29, v6
	v_sub_u32_e32 v12, 31, v10
	v_alignbit_b32 v7, v9, v7, v12
	v_lshlrev_b32_e32 v9, 31, v16
	v_or_b32_e32 v12, 0x33800000, v9
	v_add_lshl_u32 v10, v10, v11, 23
	v_lshrrev_b32_e32 v7, 9, v7
	v_sub_u32_e32 v10, v12, v10
	v_or_b32_e32 v7, v10, v7
	v_alignbit_b32 v10, v11, v13, 9
	v_or_b32_e32 v9, v10, v9
	v_xor_b32_e32 v9, 1.0, v9
	s_mov_b32 s0, 0x3fc90fda
	v_mul_f32_e32 v10, 0x3fc90fda, v9
	v_fma_f32 v11, v9, s0, -v10
	v_fmac_f32_e32 v11, 0x33a22168, v9
	v_fmac_f32_e32 v11, 0x3fc90fda, v7
	v_lshrrev_b32_e32 v6, 30, v6
	v_add_f32_e32 v7, v10, v11
	v_add_u32_e32 v6, v17, v6
	s_andn2_saveexec_b64 s[0:1], s[6:7]
	s_cbranch_execnz .LBB0_24
	s_branch .LBB0_25
.LBB0_23:
	s_andn2_saveexec_b64 s[0:1], s[6:7]
.LBB0_24:
	s_mov_b32 s2, 0x3f22f983
	v_mul_f32_e64 v6, |v2|, s2
	v_rndne_f32_e32 v9, v6
	s_mov_b32 s2, 0xbfc90fda
	v_cvt_i32_f32_e32 v6, v9
	v_fma_f32 v7, v9, s2, |v2|
	v_fmac_f32_e32 v7, 0xb3a22168, v9
	v_fmac_f32_e32 v7, 0xa7c234c4, v9
.LBB0_25:
	s_or_b64 exec, exec, s[0:1]
	v_lshlrev_b32_e32 v9, 30, v5
	v_and_b32_e32 v10, 1, v5
	v_mul_f32_e32 v11, v8, v8
	v_mov_b32_e32 v5, 0x3c0881c4
	v_fmac_f32_e32 v5, 0xb94c1982, v11
	v_mov_b32_e32 v17, 0xbe2aaa9d
	v_fma_f32 v5, v11, v5, v17
	v_mul_f32_e32 v5, v11, v5
	v_fmac_f32_e32 v8, v8, v5
	v_mov_b32_e32 v5, 0xbab64f3b
	v_fmac_f32_e32 v5, 0x37d75334, v11
	v_mov_b32_e32 v19, 0x3d2aabf7
	v_fma_f32 v5, v11, v5, v19
	v_mov_b32_e32 v20, 0xbf000004
	v_fma_f32 v12, v11, v5, v20
	s_mov_b32 s1, 0xbf317218
	v_and_b32_e32 v9, 0x80000000, v9
	v_fma_f32 v11, v11, v12, 1.0
	v_cmp_eq_u32_e32 vcc, 0, v10
	v_add_f32_e64 v12, |v3|, s1
	v_cndmask_b32_e32 v8, v11, v8, vcc
	v_xor_b32_e32 v4, v4, v9
	v_sub_f32_e64 v11, v12, |v3|
	v_xor_b32_e32 v4, v4, v8
	v_and_b32_e32 v8, 0x7fffffff, v3
	v_sub_f32_e32 v10, v11, v12
	v_mov_b32_e32 v9, 0x3f317218
	v_pk_add_f32 v[8:9], v[8:9], v[10:11]
	v_sub_f32_e32 v8, v8, v9
	v_add_f32_e32 v8, 0x3102e308, v8
	v_add_f32_e32 v9, v12, v8
	v_sub_f32_e32 v10, v12, v9
	v_add_f32_e32 v8, v8, v10
	v_mul_f32_e32 v10, 0x3fb8aa3b, v9
	v_rndne_f32_e32 v22, v10
	v_fmac_f32_e32 v9, 0xbf317200, v22
	v_add_f32_e32 v11, v8, v9
	v_mul_f32_e32 v12, 0x35bfbc00, v22
	v_sub_f32_e32 v10, v11, v12
	v_sub_f32_e32 v9, v9, v11
	;; [unrolled: 1-line block ×3, first 2 shown]
	v_add_f32_e32 v8, v8, v9
	v_sub_f32_e32 v11, v11, v12
	v_add_f32_e32 v14, v8, v11
	v_add_f32_e32 v11, v10, v14
	v_mul_f32_e32 v9, 0x2ea39ef3, v22
	v_mov_b32_e32 v8, v11
	v_pk_add_f32 v[12:13], v[10:11], v[8:9] neg_lo:[0,1] neg_hi:[0,1]
	v_sub_f32_e32 v8, v11, v13
	v_sub_f32_e32 v8, v8, v9
	v_add_f32_e32 v9, v14, v12
	v_add_f32_e32 v8, v9, v8
	;; [unrolled: 1-line block ×3, first 2 shown]
	v_mov_b32_e32 v10, 0x3c091de6
	v_fmac_f32_e32 v10, 0x3ab42872, v9
	v_mov_b32_e32 v11, 0x3d2aadcc
	v_fmac_f32_e32 v11, v9, v10
	;; [unrolled: 2-line block ×3, first 2 shown]
	v_mov_b32_e32 v11, 0x3efffffc
	v_sub_f32_e32 v12, v13, v9
	v_fmac_f32_e32 v11, v9, v10
	v_mul_f32_e32 v10, v9, v9
	v_add_f32_e32 v12, v8, v12
	v_add_f32_e32 v8, v12, v12
	v_fma_f32 v13, v9, v9, -v10
	v_fmac_f32_e32 v13, v9, v8
	v_add_f32_e32 v8, v10, v13
	v_mul_f32_e32 v14, v11, v8
	v_sub_f32_e32 v10, v8, v10
	v_sub_f32_e32 v10, v13, v10
	v_fma_f32 v13, v8, v11, -v14
	v_fmac_f32_e32 v13, v10, v11
	v_add_f32_e32 v10, v14, v13
	v_add_f32_e32 v8, v9, v10
	v_sub_f32_e32 v11, v10, v14
	v_sub_f32_e32 v11, v13, v11
	;; [unrolled: 1-line block ×3, first 2 shown]
	v_add_f32_e32 v11, v12, v11
	v_sub_f32_e32 v9, v10, v9
	v_add_f32_e32 v10, v11, v9
	v_add_f32_e32 v12, v8, v10
	s_movk_i32 s0, 0x1f8
	v_add_f32_e32 v13, 1.0, v12
	s_mov_b32 s1, -1.0
	v_mov_b32_e32 v9, -1.0
	v_pk_add_f32 v[8:9], v[12:13], v[8:9] neg_lo:[0,1] neg_hi:[0,1]
	v_pk_add_f32 v[14:15], v[12:13], s[0:1]
	v_mov_b32_e32 v9, v15
	v_mov_b32_e32 v11, v12
	v_cvt_i32_f32_e32 v12, v22
	v_pk_add_f32 v[8:9], v[10:11], v[8:9] neg_lo:[0,1] neg_hi:[0,1]
	v_add_f32_e32 v9, v8, v9
	v_add_f32_e32 v10, v13, v9
	v_ldexp_f32 v14, v10, v12
	v_rcp_f32_e32 v15, v14
	v_xor_b32_e32 v4, v4, v2
	v_mov_b32_e32 v21, 0x7fc00000
	v_cmp_class_f32_e64 vcc, v2, s0
	v_cndmask_b32_e32 v22, v21, v4, vcc
	v_sub_f32_e32 v4, v10, v13
	v_mul_f32_e32 v8, v14, v15
	v_sub_f32_e32 v4, v9, v4
	v_ldexp_f32 v23, v4, v12
	v_fma_f32 v10, v15, v14, -v8
	v_fmac_f32_e32 v10, v15, v23
	v_add_f32_e32 v4, v8, v10
	v_mov_b32_e32 v5, 1.0
	v_sub_f32_e32 v9, 1.0, v4
	v_pk_add_f32 v[12:13], v[4:5], v[8:9] neg_lo:[0,1] neg_hi:[0,1]
	v_mov_b32_e32 v11, v4
	v_pk_add_f32 v[4:5], v[12:13], v[10:11] neg_lo:[0,1] neg_hi:[0,1]
	v_add_f32_e32 v12, v4, v5
	v_add_f32_e32 v5, v9, v12
	v_mul_f32_e32 v4, v15, v5
	v_add_f32_e32 v24, v15, v4
	v_sub_f32_e32 v8, v24, v15
	v_mul_f32_e32 v10, v14, v4
	v_sub_f32_e32 v25, v4, v8
	v_fma_f32 v8, v4, v14, -v10
	v_fmac_f32_e32 v8, v4, v23
	v_add_f32_e32 v4, v10, v8
	v_sub_f32_e32 v11, v5, v4
	v_sub_f32_e32 v9, v9, v5
	v_add_f32_e32 v26, v12, v9
	v_pk_add_f32 v[12:13], v[4:5], v[10:11] neg_lo:[0,1] neg_hi:[0,1]
	v_mov_b32_e32 v9, v4
	v_pk_add_f32 v[4:5], v[12:13], v[8:9] neg_lo:[0,1] neg_hi:[0,1]
	v_add_f32_e32 v5, v26, v5
	v_add_f32_e32 v4, v4, v5
	;; [unrolled: 1-line block ×3, first 2 shown]
	v_mul_f32_e32 v4, v15, v4
	v_add_f32_e32 v4, v25, v4
	v_add_f32_e32 v5, v24, v4
	v_ldexp_f32 v8, v5, -2
	v_sub_f32_e32 v5, v5, v24
	v_add_f32_e32 v9, v14, v8
	v_sub_f32_e32 v4, v4, v5
	v_ldexp_f32 v5, v4, -2
	v_sub_f32_e32 v10, v9, v14
	v_add_f32_e32 v4, v23, v5
	v_sub_f32_e32 v10, v8, v10
	v_mov_b32_e32 v16, 0x3c0881c4
	v_add_f32_e32 v4, v4, v10
	v_mul_f32_e32 v10, v7, v7
	v_mov_b32_e32 v18, 0xbab64f3b
	v_fmac_f32_e32 v16, 0xb94c1982, v10
	v_fmac_f32_e32 v17, v10, v16
	;; [unrolled: 1-line block ×3, first 2 shown]
	v_mul_f32_e32 v11, v10, v17
	v_fmac_f32_e32 v19, v10, v18
	v_fmac_f32_e32 v7, v7, v11
	;; [unrolled: 1-line block ×3, first 2 shown]
	v_and_b32_e32 v11, 1, v6
	v_fma_f32 v10, v10, v20, 1.0
	v_cmp_eq_u32_e64 s[2:3], 0, v11
	v_lshlrev_b32_e32 v6, 30, v6
	v_cndmask_b32_e64 v7, -v7, v10, s[2:3]
	v_and_b32_e32 v6, 0x80000000, v6
	v_xor_b32_e32 v6, v6, v7
	v_sub_f32_e32 v7, v14, v8
	v_sub_f32_e32 v10, v14, v7
	;; [unrolled: 1-line block ×3, first 2 shown]
	v_add_f32_e32 v8, v23, v8
	s_mov_b32 s0, 0x42b2d4fc
	v_sub_f32_e32 v5, v8, v5
	v_add_f32_e32 v4, v9, v4
	v_mov_b32_e32 v9, 0x7f800000
	v_cmp_gt_f32_e64 s[0:1], |v3|, s0
	v_add_f32_e32 v5, v7, v5
	v_cndmask_b32_e64 v4, v4, v9, s[0:1]
	v_cndmask_b32_e64 v5, v5, v9, s[0:1]
	s_mov_b32 s0, 0x39800000
	v_cmp_lt_f32_e64 s[0:1], |v3|, s0
	s_brev_b32 s4, -2
	v_cndmask_b32_e64 v5, v5, |v3|, s[0:1]
	v_cndmask_b32_e32 v6, v21, v6, vcc
	v_bfi_b32 v5, s4, v5, v3
	v_mul_f32_e32 v4, v4, v22
	v_mul_f32_e32 v5, v5, v6
.LBB0_26:
	s_cbranch_execnz .LBB0_34
.LBB0_27:
	s_cmp_gt_i32 s18, 4
	s_cbranch_scc0 .LBB0_29
; %bb.28:
	s_waitcnt vmcnt(0)
	v_max_f32_e64 v4, |v3|, |v3|
	v_max_f32_e64 v5, |v2|, |v2|
	v_min_f32_e32 v6, v5, v4
	v_max_f32_e32 v4, v5, v4
	v_frexp_mant_f32_e32 v5, v4
	v_rcp_f32_e32 v5, v5
	v_frexp_exp_i32_f32_e32 v4, v4
	v_frexp_exp_i32_f32_e32 v7, v6
	v_frexp_mant_f32_e32 v6, v6
	v_mul_f32_e32 v5, v6, v5
	v_sub_u32_e32 v4, v7, v4
	v_ldexp_f32 v4, v5, v4
	v_mul_f32_e32 v5, v4, v4
	v_mov_b32_e32 v6, 0xbc7a590c
	v_fmac_f32_e32 v6, 0x3b2d2a58, v5
	v_mov_b32_e32 v7, 0x3d29fb3f
	v_fmac_f32_e32 v7, v5, v6
	;; [unrolled: 2-line block ×7, first 2 shown]
	v_mul_f32_e32 v5, v5, v6
	v_fmac_f32_e32 v4, v4, v5
	v_sub_f32_e32 v5, 0x3fc90fdb, v4
	v_cmp_gt_f32_e64 vcc, |v3|, |v2|
	v_cndmask_b32_e32 v4, v4, v5, vcc
	v_sub_f32_e32 v5, 0x40490fdb, v4
	v_cmp_gt_f32_e32 vcc, 0, v2
	v_cndmask_b32_e32 v4, v4, v5, vcc
	v_mov_b32_e32 v5, 0x40490fdb
	v_cmp_gt_i32_e64 s[0:1], 0, v2
	v_cndmask_b32_e64 v5, 0, v5, s[0:1]
	v_cmp_eq_f32_e64 s[0:1], 0, v3
	s_movk_i32 s2, 0x204
	v_cndmask_b32_e64 v4, v4, v5, s[0:1]
	v_mov_b32_e32 v5, 0x3f490fdb
	v_mov_b32_e32 v6, 0x4016cbe4
	v_cmp_class_f32_e64 s[0:1], v2, s2
	v_cmp_class_f32_e64 s[2:3], v3, s2
	v_cndmask_b32_e32 v5, v5, v6, vcc
	s_and_b64 vcc, s[0:1], s[2:3]
	v_cndmask_b32_e32 v4, v4, v5, vcc
	v_mov_b32_e32 v5, 0x7fc00000
	v_cmp_o_f32_e32 vcc, v3, v2
	v_cndmask_b32_e32 v4, v5, v4, vcc
	s_brev_b32 s0, -2
	s_mov_b32 s4, 0
	v_bfi_b32 v4, s0, v4, v3
	s_cbranch_execz .LBB0_30
	s_branch .LBB0_33
.LBB0_29:
                                        ; implicit-def: $sgpr4
                                        ; implicit-def: $vgpr4
.LBB0_30:
	s_waitcnt vmcnt(0)
	v_cmp_lt_f32_e64 s[0:1], |v2|, |v3|
	v_cndmask_b32_e64 v4, |v2|, |v3|, s[0:1]
	s_mov_b32 s4, 0
	v_cmp_neq_f32_e32 vcc, 0, v4
	s_and_saveexec_b64 s[2:3], vcc
	s_cbranch_execz .LBB0_32
; %bb.31:
	v_div_scale_f32 v5, s[0:1], v4, v4, v2
	v_rcp_f32_e32 v6, v5
	v_div_scale_f32 v7, vcc, v2, v4, v2
	v_fma_f32 v8, -v5, v6, 1.0
	v_fmac_f32_e32 v6, v8, v6
	v_mul_f32_e32 v8, v7, v6
	v_fma_f32 v9, -v5, v8, v7
	v_fmac_f32_e32 v8, v9, v6
	v_fma_f32 v5, -v5, v8, v7
	v_div_scale_f32 v7, s[0:1], v4, v4, v3
	v_rcp_f32_e32 v9, v7
	v_div_fmas_f32 v5, v5, v6, v8
	v_div_fixup_f32 v5, v5, v4, v2
	s_mov_b32 s0, 0xf800000
	v_fma_f32 v6, -v7, v9, 1.0
	v_fmac_f32_e32 v9, v6, v9
	v_div_scale_f32 v6, vcc, v3, v4, v3
	v_mul_f32_e32 v8, v6, v9
	v_fma_f32 v10, -v7, v8, v6
	v_fmac_f32_e32 v8, v10, v9
	v_fma_f32 v6, -v7, v8, v6
	v_div_fmas_f32 v6, v6, v9, v8
	v_div_fixup_f32 v6, v6, v4, v3
	v_mul_f32_e32 v6, v6, v6
	v_fmac_f32_e32 v6, v5, v5
	v_mul_f32_e32 v5, 0x4f800000, v6
	v_cmp_gt_f32_e32 vcc, s0, v6
	v_cndmask_b32_e32 v5, v6, v5, vcc
	v_sqrt_f32_e32 v6, v5
	v_add_u32_e32 v7, -1, v6
	v_fma_f32 v8, -v7, v6, v5
	v_cmp_ge_f32_e64 s[0:1], 0, v8
	v_add_u32_e32 v8, 1, v6
	v_cndmask_b32_e64 v7, v6, v7, s[0:1]
	v_fma_f32 v6, -v8, v6, v5
	v_cmp_lt_f32_e64 s[0:1], 0, v6
	v_cndmask_b32_e64 v6, v7, v8, s[0:1]
	v_mul_f32_e32 v7, 0x37800000, v6
	v_cndmask_b32_e32 v6, v6, v7, vcc
	v_mov_b32_e32 v7, 0x260
	v_cmp_class_f32_e32 vcc, v5, v7
	v_cndmask_b32_e32 v5, v6, v5, vcc
	v_mul_f32_e32 v4, v4, v5
.LBB0_32:
	s_or_b64 exec, exec, s[2:3]
.LBB0_33:
	v_mov_b32_e32 v5, s4
.LBB0_34:
	s_cbranch_execnz .LBB0_80
.LBB0_35:
	v_mov_b32_e32 v5, s11
	v_add_co_u32_e32 v4, vcc, s10, v0
	v_addc_co_u32_e32 v5, vcc, v5, v1, vcc
	global_load_dwordx2 v[6:7], v[4:5], off
	s_cmp_lt_i32 s18, 2
	s_cbranch_scc1 .LBB0_52
; %bb.36:
	s_cmp_gt_i32 s18, 2
	s_cbranch_scc0 .LBB0_53
; %bb.37:
	s_waitcnt vmcnt(0)
	v_max_f32_e64 v4, |v7|, |v7|
	v_max_f32_e64 v5, |v6|, |v6|
	v_max_f32_e32 v8, v5, v4
	v_cvt_f64_f32_e32 v[4:5], v8
	v_frexp_exp_i32_f64_e32 v4, v[4:5]
	v_add_u32_e32 v4, -1, v4
	v_cvt_f32_i32_e32 v4, v4
	s_mov_b32 s0, 0x7f800000
	v_cmp_lg_f32_e32 vcc, s0, v8
	v_mov_b32_e32 v5, 0xff800000
	v_cndmask_b32_e32 v4, v8, v4, vcc
	v_cmp_eq_f32_e32 vcc, 0, v8
	v_cndmask_b32_e32 v10, v4, v5, vcc
	v_cvt_i32_f32_e32 v5, v10
	v_mov_b32_e32 v8, 0x7f800000
	v_cndmask_b32_e64 v11, |v4|, v8, vcc
	v_cmp_lg_f32_e32 vcc, s0, v11
	v_sub_u32_e32 v4, 0, v5
	v_ldexp_f32 v8, v6, v4
	v_ldexp_f32 v4, v7, v4
	v_cndmask_b32_e32 v9, v6, v8, vcc
	v_cndmask_b32_e32 v8, v7, v4, vcc
	v_mul_f32_e32 v12, v8, v8
	v_mul_f32_e32 v4, v3, v8
	v_fmac_f32_e32 v12, v9, v9
	v_fmac_f32_e32 v4, v9, v2
	v_div_scale_f32 v13, s[0:1], v12, v12, v4
	v_rcp_f32_e32 v14, v13
	v_cndmask_b32_e32 v5, 0, v5, vcc
	v_sub_u32_e32 v5, 0, v5
	v_fma_f32 v15, -v13, v14, 1.0
	v_fmac_f32_e32 v14, v15, v14
	v_div_scale_f32 v15, vcc, v4, v12, v4
	v_mul_f32_e32 v16, v15, v14
	v_fma_f32 v17, -v13, v16, v15
	v_fmac_f32_e32 v16, v17, v14
	v_fma_f32 v13, -v13, v16, v15
	v_div_fmas_f32 v13, v13, v14, v16
	v_mul_f32_e32 v14, v8, v2
	v_fma_f32 v14, v3, v9, -v14
	v_div_scale_f32 v15, s[0:1], v12, v12, v14
	v_rcp_f32_e32 v16, v15
	v_div_fixup_f32 v4, v13, v12, v4
	v_ldexp_f32 v4, v4, v5
	v_fma_f32 v13, -v15, v16, 1.0
	v_fmac_f32_e32 v16, v13, v16
	v_div_scale_f32 v13, vcc, v14, v12, v14
	v_mul_f32_e32 v17, v13, v16
	v_fma_f32 v18, -v15, v17, v13
	v_fmac_f32_e32 v17, v18, v16
	v_fma_f32 v13, -v15, v17, v13
	v_div_fmas_f32 v13, v13, v16, v17
	v_div_fixup_f32 v13, v13, v12, v14
	v_ldexp_f32 v5, v13, v5
	v_cmp_u_f32_e32 vcc, v4, v4
	v_cmp_u_f32_e64 s[0:1], v5, v5
	s_and_b64 s[0:1], vcc, s[0:1]
	s_and_saveexec_b64 s[2:3], s[0:1]
	s_cbranch_execz .LBB0_51
; %bb.38:
	v_cmp_neq_f32_e64 s[6:7], 0, v12
	v_cmp_eq_f32_e32 vcc, 0, v12
                                        ; implicit-def: $vgpr12
                                        ; implicit-def: $vgpr13
	s_and_saveexec_b64 s[4:5], vcc
	s_cbranch_execz .LBB0_42
; %bb.39:
	v_cmp_o_f32_e32 vcc, v2, v2
	v_cmp_o_f32_e64 s[0:1], v3, v3
	s_or_b64 s[10:11], vcc, s[0:1]
	s_mov_b64 s[0:1], -1
                                        ; implicit-def: $vgpr12
                                        ; implicit-def: $vgpr13
	s_and_saveexec_b64 s[8:9], s[10:11]
; %bb.40:
	s_brev_b32 s0, -2
	v_mov_b32_e32 v12, 0x7f800000
	v_bfi_b32 v12, s0, v12, v9
	v_mul_f32_e32 v13, v12, v2
	v_mul_f32_e32 v12, v3, v12
	s_xor_b64 s[0:1], exec, -1
; %bb.41:
	s_or_b64 exec, exec, s[8:9]
	s_andn2_b64 s[6:7], s[6:7], exec
	s_and_b64 s[0:1], s[0:1], exec
	s_or_b64 s[6:7], s[6:7], s[0:1]
.LBB0_42:
	s_or_b64 exec, exec, s[4:5]
	s_and_saveexec_b64 s[4:5], s[6:7]
	s_cbranch_execz .LBB0_50
; %bb.43:
	s_movk_i32 s0, 0x204
	v_cmp_class_f32_e64 s[8:9], v2, s0
	v_cmp_class_f32_e64 s[6:7], v3, s0
	s_or_b64 s[0:1], s[8:9], s[6:7]
	v_and_b32_e32 v12, 0x7fffffff, v9
	s_mov_b32 s14, 0x7f800000
	s_xor_b64 s[0:1], s[0:1], -1
	v_cmp_nlg_f32_e32 vcc, s14, v12
	v_and_b32_e32 v12, 0x7fffffff, v8
	s_or_b64 s[0:1], s[0:1], vcc
	v_cmp_nlg_f32_e32 vcc, s14, v12
	s_or_b64 s[0:1], s[0:1], vcc
	s_and_saveexec_b64 s[10:11], s[0:1]
	s_xor_b64 s[10:11], exec, s[10:11]
	s_cbranch_execz .LBB0_47
; %bb.44:
	v_cmp_eq_f32_e32 vcc, s14, v11
	v_cmp_lt_f32_e64 s[0:1], 0, v10
	s_movk_i32 s15, 0x1f8
	s_and_b64 s[0:1], s[0:1], vcc
	v_cmp_class_f32_e64 s[16:17], v2, s15
	v_and_b32_e32 v10, 0x7fffffff, v3
	s_and_b64 s[0:1], s[16:17], s[0:1]
	v_cmp_lg_f32_e32 vcc, s14, v10
	s_and_b64 s[14:15], s[0:1], vcc
	s_and_saveexec_b64 s[0:1], s[14:15]
	s_cbranch_execz .LBB0_46
; %bb.45:
	s_movk_i32 s14, 0x204
	v_mov_b32_e32 v10, 0x3ff00000
	v_cmp_class_f32_e64 vcc, v9, s14
	v_mov_b32_e32 v4, 0
	v_cndmask_b32_e32 v5, 0, v10, vcc
	v_cvt_f32_f64_e32 v5, v[4:5]
	s_brev_b32 s15, -2
	v_cmp_class_f32_e64 vcc, v8, s14
	v_bfi_b32 v9, s15, v5, v9
	v_cndmask_b32_e32 v5, 0, v10, vcc
	v_cvt_f32_f64_e32 v4, v[4:5]
	v_bfi_b32 v5, s15, v4, v8
	v_mul_f32_e32 v4, v3, v5
	v_mul_f32_e32 v5, v2, v5
	v_fmac_f32_e32 v4, v2, v9
	v_fma_f32 v5, v3, v9, -v5
	v_mul_f32_e32 v4, 0, v4
	v_mul_f32_e32 v5, 0, v5
.LBB0_46:
	s_or_b64 exec, exec, s[0:1]
                                        ; implicit-def: $vgpr8
                                        ; implicit-def: $vgpr9
.LBB0_47:
	s_andn2_saveexec_b64 s[0:1], s[10:11]
	s_cbranch_execz .LBB0_49
; %bb.48:
	v_cndmask_b32_e64 v4, 0, 1, s[8:9]
	v_cvt_f64_u32_e32 v[4:5], v4
	v_cvt_f32_f64_e32 v4, v[4:5]
	s_brev_b32 s8, -2
	v_bfi_b32 v10, s8, v4, v2
	v_cndmask_b32_e64 v4, 0, 1, s[6:7]
	v_cvt_f64_u32_e32 v[4:5], v4
	v_cvt_f32_f64_e32 v4, v[4:5]
	v_bfi_b32 v5, s8, v4, v3
	v_mul_f32_e32 v4, v8, v5
	v_mul_f32_e32 v8, v8, v10
	v_fmac_f32_e32 v4, v9, v10
	v_fma_f32 v5, v9, v5, -v8
	v_mul_f32_e32 v4, 0x7f800000, v4
	v_mul_f32_e32 v5, 0x7f800000, v5
.LBB0_49:
	s_or_b64 exec, exec, s[0:1]
	v_mov_b32_e32 v12, v5
	v_mov_b32_e32 v13, v4
.LBB0_50:
	s_or_b64 exec, exec, s[4:5]
	v_mov_b32_e32 v5, v12
	v_mov_b32_e32 v4, v13
.LBB0_51:
	s_or_b64 exec, exec, s[2:3]
	s_cbranch_execz .LBB0_54
	s_branch .LBB0_73
.LBB0_52:
                                        ; implicit-def: $vgpr5
	s_branch .LBB0_74
.LBB0_53:
                                        ; implicit-def: $vgpr5
.LBB0_54:
	s_waitcnt vmcnt(0)
	v_pk_mul_f32 v[10:11], v[2:3], v[6:7]
	v_mov_b32_e32 v4, v3
	v_mov_b32_e32 v5, v2
	v_pk_mul_f32 v[8:9], v[4:5], v[6:7]
	v_sub_f32_e32 v4, v10, v11
	v_add_f32_e32 v5, v8, v9
	v_cmp_u_f32_e32 vcc, v4, v4
	s_and_saveexec_b64 s[6:7], vcc
	s_cbranch_execz .LBB0_72
; %bb.55:
	v_cmp_u_f32_e32 vcc, v5, v5
	s_and_saveexec_b64 s[8:9], vcc
	s_cbranch_execz .LBB0_71
; %bb.56:
	s_movk_i32 s10, 0x204
	v_cmp_class_f32_e64 s[4:5], v2, s10
	v_cmp_class_f32_e64 s[0:1], v3, s10
	s_or_b64 s[14:15], s[4:5], s[0:1]
	v_mov_b32_e32 v12, v7
	v_mov_b32_e32 v16, 0
	v_mov_b32_e32 v13, v6
	v_mov_b32_e32 v14, v3
	v_mov_b32_e32 v15, v2
	s_and_saveexec_b64 s[2:3], s[14:15]
	s_cbranch_execz .LBB0_60
; %bb.57:
	v_cndmask_b32_e64 v13, 0, 1, s[4:5]
	v_cvt_f64_u32_e32 v[14:15], v13
	v_cvt_f32_f64_e32 v13, v[14:15]
	v_cndmask_b32_e64 v14, 0, 1, s[0:1]
	s_brev_b32 s11, -2
	v_cvt_f64_u32_e32 v[14:15], v14
	v_cvt_f32_f64_e32 v14, v[14:15]
	v_cmp_u_f32_e32 vcc, v6, v6
	v_bfi_b32 v16, s11, 0, v6
	v_cmp_u_f32_e64 s[0:1], v7, v7
	s_and_saveexec_b64 s[4:5], s[0:1]
; %bb.58:
	v_bfi_b32 v12, s11, 0, v7
; %bb.59:
	s_or_b64 exec, exec, s[4:5]
	v_bfi_b32 v15, s11, v13, v2
	v_bfi_b32 v14, s11, v14, v3
	v_cndmask_b32_e32 v13, v6, v16, vcc
	v_mov_b32_e32 v16, 1
.LBB0_60:
	s_or_b64 exec, exec, s[2:3]
	v_cmp_class_f32_e64 s[4:5], v13, s10
	v_cmp_class_f32_e64 s[0:1], v12, s10
	s_or_b64 s[10:11], s[0:1], s[4:5]
	s_and_saveexec_b64 s[2:3], s[10:11]
	s_cbranch_execz .LBB0_64
; %bb.61:
	v_cndmask_b32_e64 v16, 0, 1, s[4:5]
	v_cvt_f64_u32_e32 v[16:17], v16
	v_cvt_f32_f64_e32 v16, v[16:17]
	v_cndmask_b32_e64 v17, 0, 1, s[0:1]
	s_brev_b32 s10, -2
	v_cvt_f64_u32_e32 v[18:19], v17
	v_cvt_f32_f64_e32 v17, v[18:19]
	v_cmp_u_f32_e32 vcc, v15, v15
	v_bfi_b32 v18, s10, 0, v15
	v_cmp_u_f32_e64 s[0:1], v14, v14
	s_and_saveexec_b64 s[4:5], s[0:1]
; %bb.62:
	v_bfi_b32 v14, s10, 0, v14
; %bb.63:
	s_or_b64 exec, exec, s[4:5]
	v_bfi_b32 v13, s10, v16, v13
	v_bfi_b32 v12, s10, v17, v12
	v_cndmask_b32_e32 v15, v15, v18, vcc
	v_mov_b32_e32 v16, 1
.LBB0_64:
	s_or_b64 exec, exec, s[2:3]
	v_cmp_eq_u32_e32 vcc, 0, v16
	s_mov_b64 s[0:1], 0
	s_and_saveexec_b64 s[10:11], vcc
	s_cbranch_execz .LBB0_70
; %bb.65:
	s_movk_i32 s4, 0x204
	v_cmp_class_f32_e64 s[0:1], v10, s4
	v_cmp_class_f32_e64 s[2:3], v11, s4
	s_or_b64 s[0:1], s[0:1], s[2:3]
	v_cmp_class_f32_e64 s[2:3], v9, s4
	s_or_b64 s[0:1], s[2:3], s[0:1]
	;; [unrolled: 2-line block ×3, first 2 shown]
	s_mov_b64 s[0:1], -1
	s_and_saveexec_b64 s[14:15], s[2:3]
	s_cbranch_execz .LBB0_69
; %bb.66:
	s_brev_b32 s19, -2
	v_cmp_u_f32_e32 vcc, v15, v15
	v_bfi_b32 v8, s19, 0, v15
	v_cmp_u_f32_e64 s[0:1], v14, v14
	v_bfi_b32 v9, s19, 0, v14
	v_cmp_u_f32_e64 s[2:3], v13, v13
	;; [unrolled: 2-line block ×3, first 2 shown]
	s_and_saveexec_b64 s[16:17], s[4:5]
; %bb.67:
	v_bfi_b32 v12, s19, 0, v12
; %bb.68:
	s_or_b64 exec, exec, s[16:17]
	v_cndmask_b32_e32 v15, v15, v8, vcc
	v_cndmask_b32_e64 v14, v14, v9, s[0:1]
	v_cndmask_b32_e64 v13, v13, v10, s[2:3]
	s_xor_b64 s[0:1], exec, -1
.LBB0_69:
	s_or_b64 exec, exec, s[14:15]
	s_and_b64 s[0:1], s[0:1], exec
.LBB0_70:
	s_or_b64 exec, exec, s[10:11]
	v_mul_f32_e32 v8, v12, v14
	v_mul_f32_e32 v9, v12, v15
	v_fma_f32 v8, v13, v15, -v8
	v_fmac_f32_e32 v9, v13, v14
	v_mul_f32_e32 v8, 0x7f800000, v8
	v_mul_f32_e32 v9, 0x7f800000, v9
	v_cndmask_b32_e64 v5, v9, v5, s[0:1]
	v_cndmask_b32_e64 v4, v8, v4, s[0:1]
.LBB0_71:
	s_or_b64 exec, exec, s[8:9]
.LBB0_72:
	s_or_b64 exec, exec, s[6:7]
.LBB0_73:
	s_cbranch_execnz .LBB0_80
.LBB0_74:
	s_cmp_gt_i32 s18, 0
	s_cbranch_scc0 .LBB0_76
; %bb.75:
	s_waitcnt vmcnt(0)
	v_sub_f32_e32 v4, v2, v6
	v_sub_f32_e32 v5, v3, v7
	s_cbranch_execz .LBB0_77
	s_branch .LBB0_80
.LBB0_76:
                                        ; implicit-def: $vgpr5
.LBB0_77:
	s_cmp_lg_u32 s18, 0
	s_cbranch_scc1 .LBB0_79
; %bb.78:
	s_waitcnt vmcnt(0)
	v_add_f32_e32 v2, v6, v2
	v_add_f32_e32 v3, v3, v7
.LBB0_79:
	s_waitcnt vmcnt(1)
	v_mov_b32_e32 v5, v3
	v_mov_b32_e32 v4, v2
.LBB0_80:
	s_waitcnt vmcnt(0)
	v_mov_b32_e32 v2, s13
	v_add_co_u32_e32 v0, vcc, s12, v0
	v_addc_co_u32_e32 v1, vcc, v2, v1, vcc
	global_store_dwordx2 v[0:1], v[4:5], off
	s_endpgm
	.section	.rodata,"a",@progbits
	.p2align	6, 0x0
	.amdhsa_kernel _Z6kernelIfEvPSt7complexIT_ES3_S3_8CalcKind
		.amdhsa_group_segment_fixed_size 0
		.amdhsa_private_segment_fixed_size 0
		.amdhsa_kernarg_size 288
		.amdhsa_user_sgpr_count 6
		.amdhsa_user_sgpr_private_segment_buffer 1
		.amdhsa_user_sgpr_dispatch_ptr 0
		.amdhsa_user_sgpr_queue_ptr 0
		.amdhsa_user_sgpr_kernarg_segment_ptr 1
		.amdhsa_user_sgpr_dispatch_id 0
		.amdhsa_user_sgpr_flat_scratch_init 0
		.amdhsa_user_sgpr_kernarg_preload_length 0
		.amdhsa_user_sgpr_kernarg_preload_offset 0
		.amdhsa_user_sgpr_private_segment_size 0
		.amdhsa_uses_dynamic_stack 0
		.amdhsa_system_sgpr_private_segment_wavefront_offset 0
		.amdhsa_system_sgpr_workgroup_id_x 1
		.amdhsa_system_sgpr_workgroup_id_y 0
		.amdhsa_system_sgpr_workgroup_id_z 0
		.amdhsa_system_sgpr_workgroup_info 0
		.amdhsa_system_vgpr_workitem_id 0
		.amdhsa_next_free_vgpr 27
		.amdhsa_next_free_sgpr 20
		.amdhsa_accum_offset 28
		.amdhsa_reserve_vcc 1
		.amdhsa_reserve_flat_scratch 0
		.amdhsa_float_round_mode_32 0
		.amdhsa_float_round_mode_16_64 0
		.amdhsa_float_denorm_mode_32 3
		.amdhsa_float_denorm_mode_16_64 3
		.amdhsa_dx10_clamp 1
		.amdhsa_ieee_mode 1
		.amdhsa_fp16_overflow 0
		.amdhsa_tg_split 0
		.amdhsa_exception_fp_ieee_invalid_op 0
		.amdhsa_exception_fp_denorm_src 0
		.amdhsa_exception_fp_ieee_div_zero 0
		.amdhsa_exception_fp_ieee_overflow 0
		.amdhsa_exception_fp_ieee_underflow 0
		.amdhsa_exception_fp_ieee_inexact 0
		.amdhsa_exception_int_div_zero 0
	.end_amdhsa_kernel
	.section	.text._Z6kernelIfEvPSt7complexIT_ES3_S3_8CalcKind,"axG",@progbits,_Z6kernelIfEvPSt7complexIT_ES3_S3_8CalcKind,comdat
.Lfunc_end0:
	.size	_Z6kernelIfEvPSt7complexIT_ES3_S3_8CalcKind, .Lfunc_end0-_Z6kernelIfEvPSt7complexIT_ES3_S3_8CalcKind
                                        ; -- End function
	.section	.AMDGPU.csdata,"",@progbits
; Kernel info:
; codeLenInByte = 7080
; NumSgprs: 24
; NumVgprs: 27
; NumAgprs: 0
; TotalNumVgprs: 27
; ScratchSize: 0
; MemoryBound: 0
; FloatMode: 240
; IeeeMode: 1
; LDSByteSize: 0 bytes/workgroup (compile time only)
; SGPRBlocks: 2
; VGPRBlocks: 3
; NumSGPRsForWavesPerEU: 24
; NumVGPRsForWavesPerEU: 27
; AccumOffset: 28
; Occupancy: 8
; WaveLimiterHint : 0
; COMPUTE_PGM_RSRC2:SCRATCH_EN: 0
; COMPUTE_PGM_RSRC2:USER_SGPR: 6
; COMPUTE_PGM_RSRC2:TRAP_HANDLER: 0
; COMPUTE_PGM_RSRC2:TGID_X_EN: 1
; COMPUTE_PGM_RSRC2:TGID_Y_EN: 0
; COMPUTE_PGM_RSRC2:TGID_Z_EN: 0
; COMPUTE_PGM_RSRC2:TIDIG_COMP_CNT: 0
; COMPUTE_PGM_RSRC3_GFX90A:ACCUM_OFFSET: 6
; COMPUTE_PGM_RSRC3_GFX90A:TG_SPLIT: 0
	.section	.text._Z6kernelIdEvPSt7complexIT_ES3_S3_8CalcKind,"axG",@progbits,_Z6kernelIdEvPSt7complexIT_ES3_S3_8CalcKind,comdat
	.protected	_Z6kernelIdEvPSt7complexIT_ES3_S3_8CalcKind ; -- Begin function _Z6kernelIdEvPSt7complexIT_ES3_S3_8CalcKind
	.globl	_Z6kernelIdEvPSt7complexIT_ES3_S3_8CalcKind
	.p2align	8
	.type	_Z6kernelIdEvPSt7complexIT_ES3_S3_8CalcKind,@function
_Z6kernelIdEvPSt7complexIT_ES3_S3_8CalcKind: ; @_Z6kernelIdEvPSt7complexIT_ES3_S3_8CalcKind
; %bb.0:
	s_load_dword s0, s[4:5], 0x2c
	s_load_dwordx4 s[8:11], s[4:5], 0x0
	s_load_dwordx2 s[12:13], s[4:5], 0x10
	s_load_dword s26, s[4:5], 0x18
	s_waitcnt lgkmcnt(0)
	s_and_b32 s0, s0, 0xffff
	s_mul_i32 s6, s6, s0
	v_add_u32_e32 v0, s6, v0
	v_ashrrev_i32_e32 v1, 31, v0
	v_lshlrev_b64 v[12:13], 4, v[0:1]
	v_mov_b32_e32 v2, s9
	v_add_co_u32_e32 v0, vcc, s8, v12
	v_addc_co_u32_e32 v1, vcc, v2, v13, vcc
	global_load_dwordx4 v[0:3], v[0:1], off
	s_cmp_lt_i32 s26, 4
	s_cbranch_scc1 .LBB1_6
; %bb.1:
	s_cmp_lt_i32 s26, 6
	s_cbranch_scc1 .LBB1_7
; %bb.2:
	;; [unrolled: 3-line block ×3, first 2 shown]
	s_cmp_eq_u32 s26, 7
	s_waitcnt vmcnt(0)
	v_pk_mov_b32 v[6:7], v[2:3], v[2:3] op_sel:[0,1]
	v_pk_mov_b32 v[4:5], v[0:1], v[0:1] op_sel:[0,1]
	s_cbranch_scc0 .LBB1_9
; %bb.4:
	s_mov_b32 s0, 0
	s_mov_b32 s1, 0x41d00000
	v_cmp_nlt_f64_e64 s[2:3], |v[0:1]|, s[0:1]
                                        ; implicit-def: $vgpr19
                                        ; implicit-def: $vgpr4_vgpr5
                                        ; implicit-def: $vgpr14_vgpr15
	s_and_saveexec_b64 s[0:1], s[2:3]
	s_xor_b64 s[4:5], exec, s[0:1]
	s_cbranch_execz .LBB1_10
; %bb.5:
	s_mov_b32 s0, 0
	s_mov_b32 s1, 0x7b000000
	s_movk_i32 s6, 0xff80
	v_and_b32_e32 v10, 0x7fffffff, v1
	v_ldexp_f64 v[8:9], |v[0:1]|, s6
	v_cmp_ge_f64_e64 vcc, |v[0:1]|, s[0:1]
	v_trig_preop_f64 v[4:5], |v[0:1]|, 0
	v_cndmask_b32_e32 v9, v10, v9, vcc
	v_cndmask_b32_e32 v8, v0, v8, vcc
	v_trig_preop_f64 v[6:7], |v[0:1]|, 1
	v_mul_f64 v[14:15], v[4:5], v[8:9]
	v_mul_f64 v[10:11], v[6:7], v[8:9]
	v_fma_f64 v[4:5], v[4:5], v[8:9], -v[14:15]
	v_add_f64 v[16:17], v[10:11], v[4:5]
	v_add_f64 v[18:19], v[14:15], v[16:17]
	s_mov_b32 s0, 0
	v_ldexp_f64 v[20:21], v[18:19], -2
	s_mov_b32 s1, 0x7ff00000
	v_fract_f64_e32 v[22:23], v[20:21]
	v_cmp_neq_f64_e64 vcc, |v[20:21]|, s[0:1]
	v_cndmask_b32_e32 v21, 0, v23, vcc
	v_cndmask_b32_e32 v20, 0, v22, vcc
	v_add_f64 v[22:23], v[16:17], -v[10:11]
	v_add_f64 v[4:5], v[4:5], -v[22:23]
	;; [unrolled: 1-line block ×4, first 2 shown]
	v_fma_f64 v[6:7], v[6:7], v[8:9], -v[10:11]
	v_trig_preop_f64 v[10:11], |v[0:1]|, 2
	v_add_f64 v[4:5], v[4:5], v[22:23]
	v_mul_f64 v[22:23], v[10:11], v[8:9]
	v_add_f64 v[26:27], v[22:23], v[6:7]
	v_add_f64 v[28:29], v[26:27], v[4:5]
	v_add_f64 v[14:15], v[18:19], -v[14:15]
	v_add_f64 v[18:19], v[28:29], -v[26:27]
	;; [unrolled: 1-line block ×5, first 2 shown]
	v_add_f64 v[4:5], v[4:5], v[18:19]
	v_add_f64 v[18:19], v[26:27], -v[22:23]
	v_add_f64 v[6:7], v[6:7], -v[18:19]
	;; [unrolled: 1-line block ×4, first 2 shown]
	v_add_f64 v[6:7], v[6:7], v[18:19]
	v_add_f64 v[14:15], v[16:17], -v[14:15]
	v_add_f64 v[4:5], v[6:7], v[4:5]
	v_fma_f64 v[6:7], v[10:11], v[8:9], -v[22:23]
	v_add_f64 v[16:17], v[14:15], v[28:29]
	v_add_f64 v[4:5], v[6:7], v[4:5]
	v_ldexp_f64 v[6:7], v[20:21], 2
	v_add_f64 v[8:9], v[16:17], v[6:7]
	v_mov_b32_e32 v10, 0x40100000
	v_cmp_gt_f64_e32 vcc, 0, v[8:9]
	v_mov_b32_e32 v24, 0
	v_cndmask_b32_e32 v25, 0, v10, vcc
	v_add_f64 v[6:7], v[6:7], v[24:25]
	v_add_f64 v[8:9], v[16:17], v[6:7]
	v_cvt_i32_f64_e32 v10, v[8:9]
	v_cvt_f64_i32_e32 v[8:9], v10
	v_add_f64 v[6:7], v[6:7], -v[8:9]
	v_add_f64 v[14:15], v[16:17], -v[14:15]
	v_add_f64 v[8:9], v[16:17], v[6:7]
	v_add_f64 v[14:15], v[28:29], -v[14:15]
	v_add_f64 v[6:7], v[8:9], -v[6:7]
	v_add_f64 v[4:5], v[14:15], v[4:5]
	v_add_f64 v[6:7], v[16:17], -v[6:7]
	v_add_f64 v[4:5], v[4:5], v[6:7]
	v_cmp_le_f64_e32 vcc, 0.5, v[8:9]
	v_mov_b32_e32 v6, 0x3ff00000
	v_cndmask_b32_e32 v25, 0, v6, vcc
	v_addc_co_u32_e64 v19, s[0:1], 0, v10, vcc
	v_add_f64 v[6:7], v[8:9], -v[24:25]
	v_add_f64 v[8:9], v[6:7], v[4:5]
	s_mov_b32 s0, 0x54442d18
	v_add_f64 v[6:7], v[8:9], -v[6:7]
	s_mov_b32 s1, 0x3ff921fb
	v_add_f64 v[4:5], v[4:5], -v[6:7]
	v_mul_f64 v[6:7], v[8:9], s[0:1]
	s_mov_b32 s6, 0x33145c07
	v_fma_f64 v[10:11], v[8:9], s[0:1], -v[6:7]
	s_mov_b32 s7, 0x3c91a626
	v_fmac_f64_e32 v[10:11], s[6:7], v[8:9]
	v_fmac_f64_e32 v[10:11], s[0:1], v[4:5]
	v_add_f64 v[4:5], v[6:7], v[10:11]
	v_add_f64 v[6:7], v[4:5], -v[6:7]
	v_add_f64 v[14:15], v[10:11], -v[6:7]
	s_andn2_saveexec_b64 s[0:1], s[4:5]
	s_cbranch_execz .LBB1_12
	s_branch .LBB1_11
.LBB1_6:
                                        ; implicit-def: $vgpr6_vgpr7
	s_branch .LBB1_35
.LBB1_7:
                                        ; implicit-def: $vgpr6_vgpr7
	s_branch .LBB1_27
.LBB1_8:
                                        ; implicit-def: $vgpr6_vgpr7
	s_branch .LBB1_17
.LBB1_9:
	s_cbranch_execnz .LBB1_26
	s_branch .LBB1_17
.LBB1_10:
	s_andn2_saveexec_b64 s[0:1], s[4:5]
	s_cbranch_execz .LBB1_12
.LBB1_11:
	s_mov_b32 s4, 0x6dc9c883
	s_mov_b32 s5, 0x3fe45f30
	v_mul_f64 v[4:5], |v[0:1]|, s[4:5]
	s_mov_b32 s4, 0x54442d18
	v_rndne_f64_e32 v[6:7], v[4:5]
	s_mov_b32 s5, 0xbff921fb
	v_fma_f64 v[4:5], v[6:7], s[4:5], |v[0:1]|
	s_mov_b32 s5, 0xbc91a626
	s_mov_b32 s4, 0x33145c00
	v_mul_f64 v[10:11], v[6:7], s[4:5]
	v_add_f64 v[16:17], v[4:5], v[10:11]
	v_fma_f64 v[8:9], s[4:5], v[6:7], v[4:5]
	s_mov_b32 s5, 0x3c91a626
	v_add_f64 v[4:5], v[4:5], -v[16:17]
	v_fma_f64 v[14:15], s[4:5], v[6:7], v[10:11]
	v_add_f64 v[4:5], v[4:5], v[10:11]
	v_add_f64 v[10:11], v[16:17], -v[8:9]
	v_add_f64 v[4:5], v[10:11], v[4:5]
	s_mov_b32 s4, 0x252049c0
	v_add_f64 v[10:11], v[4:5], -v[14:15]
	s_mov_b32 s5, 0xb97b839a
	v_fmac_f64_e32 v[10:11], s[4:5], v[6:7]
	v_add_f64 v[4:5], v[8:9], v[10:11]
	v_add_f64 v[8:9], v[4:5], -v[8:9]
	v_add_f64 v[14:15], v[10:11], -v[8:9]
	v_cvt_i32_f64_e32 v19, v[6:7]
.LBB1_12:
	s_or_b64 exec, exec, s[0:1]
                                        ; implicit-def: $vgpr18
                                        ; implicit-def: $vgpr6_vgpr7
                                        ; implicit-def: $vgpr8_vgpr9
	s_and_saveexec_b64 s[0:1], s[2:3]
	s_xor_b64 s[2:3], exec, s[0:1]
	s_cbranch_execz .LBB1_14
; %bb.13:
	s_mov_b32 s0, 0
	s_mov_b32 s1, 0x7b000000
	s_movk_i32 s4, 0xff80
	v_and_b32_e32 v16, 0x7fffffff, v1
	v_ldexp_f64 v[10:11], |v[0:1]|, s4
	v_cmp_ge_f64_e64 vcc, |v[0:1]|, s[0:1]
	v_trig_preop_f64 v[6:7], |v[0:1]|, 0
	v_cndmask_b32_e32 v11, v16, v11, vcc
	v_cndmask_b32_e32 v10, v0, v10, vcc
	v_trig_preop_f64 v[8:9], |v[0:1]|, 1
	v_mul_f64 v[20:21], v[6:7], v[10:11]
	v_mul_f64 v[16:17], v[8:9], v[10:11]
	v_fma_f64 v[6:7], v[6:7], v[10:11], -v[20:21]
	v_add_f64 v[22:23], v[16:17], v[6:7]
	v_add_f64 v[24:25], v[20:21], v[22:23]
	s_mov_b32 s0, 0
	v_ldexp_f64 v[26:27], v[24:25], -2
	s_mov_b32 s1, 0x7ff00000
	v_fract_f64_e32 v[28:29], v[26:27]
	v_cmp_neq_f64_e64 vcc, |v[26:27]|, s[0:1]
	v_cndmask_b32_e32 v27, 0, v29, vcc
	v_cndmask_b32_e32 v26, 0, v28, vcc
	v_add_f64 v[28:29], v[22:23], -v[16:17]
	v_add_f64 v[6:7], v[6:7], -v[28:29]
	;; [unrolled: 1-line block ×4, first 2 shown]
	v_fma_f64 v[8:9], v[8:9], v[10:11], -v[16:17]
	v_trig_preop_f64 v[16:17], |v[0:1]|, 2
	v_add_f64 v[6:7], v[6:7], v[28:29]
	v_mul_f64 v[28:29], v[16:17], v[10:11]
	v_add_f64 v[32:33], v[28:29], v[8:9]
	v_add_f64 v[34:35], v[32:33], v[6:7]
	v_add_f64 v[20:21], v[24:25], -v[20:21]
	v_add_f64 v[24:25], v[34:35], -v[32:33]
	;; [unrolled: 1-line block ×5, first 2 shown]
	v_add_f64 v[6:7], v[6:7], v[24:25]
	v_add_f64 v[24:25], v[32:33], -v[28:29]
	v_add_f64 v[8:9], v[8:9], -v[24:25]
	;; [unrolled: 1-line block ×4, first 2 shown]
	v_add_f64 v[8:9], v[8:9], v[24:25]
	v_add_f64 v[20:21], v[22:23], -v[20:21]
	v_add_f64 v[6:7], v[8:9], v[6:7]
	v_fma_f64 v[8:9], v[16:17], v[10:11], -v[28:29]
	v_add_f64 v[22:23], v[20:21], v[34:35]
	v_add_f64 v[6:7], v[8:9], v[6:7]
	v_ldexp_f64 v[8:9], v[26:27], 2
	v_add_f64 v[10:11], v[22:23], v[8:9]
	v_mov_b32_e32 v16, 0x40100000
	v_cmp_gt_f64_e32 vcc, 0, v[10:11]
	v_mov_b32_e32 v30, 0
	v_cndmask_b32_e32 v31, 0, v16, vcc
	v_add_f64 v[8:9], v[8:9], v[30:31]
	v_add_f64 v[10:11], v[22:23], v[8:9]
	v_cvt_i32_f64_e32 v16, v[10:11]
	v_cvt_f64_i32_e32 v[10:11], v16
	v_add_f64 v[8:9], v[8:9], -v[10:11]
	v_add_f64 v[20:21], v[22:23], -v[20:21]
	v_add_f64 v[10:11], v[22:23], v[8:9]
	v_add_f64 v[20:21], v[34:35], -v[20:21]
	v_add_f64 v[8:9], v[10:11], -v[8:9]
	v_add_f64 v[6:7], v[20:21], v[6:7]
	v_add_f64 v[8:9], v[22:23], -v[8:9]
	v_add_f64 v[6:7], v[6:7], v[8:9]
	v_cmp_le_f64_e32 vcc, 0.5, v[10:11]
	v_mov_b32_e32 v8, 0x3ff00000
	v_cndmask_b32_e32 v31, 0, v8, vcc
	v_addc_co_u32_e64 v18, s[0:1], 0, v16, vcc
	v_add_f64 v[8:9], v[10:11], -v[30:31]
	v_add_f64 v[10:11], v[8:9], v[6:7]
	s_mov_b32 s0, 0x54442d18
	v_add_f64 v[8:9], v[10:11], -v[8:9]
	s_mov_b32 s1, 0x3ff921fb
	v_add_f64 v[6:7], v[6:7], -v[8:9]
	v_mul_f64 v[8:9], v[10:11], s[0:1]
	s_mov_b32 s4, 0x33145c07
	v_fma_f64 v[16:17], v[10:11], s[0:1], -v[8:9]
	s_mov_b32 s5, 0x3c91a626
	v_fmac_f64_e32 v[16:17], s[4:5], v[10:11]
	v_fmac_f64_e32 v[16:17], s[0:1], v[6:7]
	v_add_f64 v[6:7], v[8:9], v[16:17]
	v_add_f64 v[8:9], v[6:7], -v[8:9]
	v_add_f64 v[8:9], v[16:17], -v[8:9]
	s_andn2_saveexec_b64 s[0:1], s[2:3]
	s_cbranch_execnz .LBB1_15
	s_branch .LBB1_16
.LBB1_14:
	s_andn2_saveexec_b64 s[0:1], s[2:3]
	s_cbranch_execz .LBB1_16
.LBB1_15:
	s_mov_b32 s2, 0x6dc9c883
	s_mov_b32 s3, 0x3fe45f30
	v_mul_f64 v[6:7], |v[0:1]|, s[2:3]
	s_mov_b32 s2, 0x54442d18
	v_rndne_f64_e32 v[10:11], v[6:7]
	s_mov_b32 s3, 0xbff921fb
	v_fma_f64 v[6:7], v[10:11], s[2:3], |v[0:1]|
	s_mov_b32 s3, 0xbc91a626
	s_mov_b32 s2, 0x33145c00
	v_mul_f64 v[16:17], v[10:11], s[2:3]
	v_add_f64 v[22:23], v[6:7], v[16:17]
	v_fma_f64 v[8:9], s[2:3], v[10:11], v[6:7]
	s_mov_b32 s3, 0x3c91a626
	v_add_f64 v[6:7], v[6:7], -v[22:23]
	v_fma_f64 v[20:21], s[2:3], v[10:11], v[16:17]
	v_add_f64 v[6:7], v[6:7], v[16:17]
	v_add_f64 v[16:17], v[22:23], -v[8:9]
	v_add_f64 v[6:7], v[16:17], v[6:7]
	s_mov_b32 s2, 0x252049c0
	v_add_f64 v[16:17], v[6:7], -v[20:21]
	s_mov_b32 s3, 0xb97b839a
	v_fmac_f64_e32 v[16:17], s[2:3], v[10:11]
	v_add_f64 v[6:7], v[8:9], v[16:17]
	v_add_f64 v[8:9], v[6:7], -v[8:9]
	v_add_f64 v[8:9], v[16:17], -v[8:9]
	v_cvt_i32_f64_e32 v18, v[10:11]
.LBB1_16:
	s_or_b64 exec, exec, s[0:1]
	s_mov_b32 s0, 0x9037ab78
	s_mov_b32 s1, 0x3e21eeb6
	;; [unrolled: 1-line block ×3, first 2 shown]
	v_mul_f64 v[20:21], v[4:5], v[4:5]
	s_mov_b32 s3, 0xbda907db
	v_pk_mov_b32 v[10:11], s[0:1], s[0:1] op_sel:[0,1]
	s_mov_b32 s4, 0xa17f65f6
	v_mul_f64 v[16:17], v[20:21], 0.5
	v_fma_f64 v[26:27], s[2:3], v[20:21], v[10:11]
	s_mov_b32 s5, 0xbe927e4f
	s_mov_b32 s6, 0x19f4ec90
	v_add_f64 v[22:23], -v[16:17], 1.0
	v_fma_f64 v[26:27], v[20:21], v[26:27], s[4:5]
	s_mov_b32 s7, 0x3efa01a0
	s_mov_b32 s8, 0x16c16967
	v_fma_f64 v[26:27], v[20:21], v[26:27], s[6:7]
	s_mov_b32 s9, 0xbf56c16c
	s_mov_b32 s14, 0x55555555
	v_add_f64 v[28:29], -v[22:23], 1.0
	v_fma_f64 v[26:27], v[20:21], v[26:27], s[8:9]
	s_mov_b32 s15, 0x3fa55555
	v_add_f64 v[16:17], v[28:29], -v[16:17]
	v_mul_f64 v[24:25], v[20:21], v[20:21]
	v_fma_f64 v[26:27], v[20:21], v[26:27], s[14:15]
	v_fma_f64 v[16:17], v[4:5], -v[14:15], v[16:17]
	s_mov_b32 s0, 0xb42fdfa7
	v_fmac_f64_e32 v[16:17], v[24:25], v[26:27]
	s_mov_b32 s1, 0xbe5ae600
	s_mov_b32 s16, 0xf9a43bb8
	v_add_f64 v[22:23], v[22:23], v[16:17]
	s_mov_b32 s17, 0x3de5e0b2
	v_pk_mov_b32 v[16:17], s[0:1], s[0:1] op_sel:[0,1]
	s_mov_b32 s18, 0x796cde01
	v_fma_f64 v[26:27], s[16:17], v[20:21], v[16:17]
	s_mov_b32 s19, 0x3ec71de3
	s_mov_b32 s20, 0x19e83e5c
	v_fma_f64 v[26:27], v[20:21], v[26:27], s[18:19]
	s_mov_b32 s21, 0xbf2a01a0
	;; [unrolled: 3-line block ×3, first 2 shown]
	v_mul_f64 v[24:25], v[4:5], -v[20:21]
	v_fma_f64 v[26:27], v[20:21], v[26:27], s[22:23]
	v_mul_f64 v[28:29], v[14:15], 0.5
	v_fmac_f64_e32 v[28:29], v[24:25], v[26:27]
	v_fma_f64 v[14:15], v[20:21], v[28:29], -v[14:15]
	s_mov_b32 s25, 0xbfc55555
	s_mov_b32 s24, s14
	v_fmac_f64_e32 v[14:15], s[24:25], v[24:25]
	v_and_b32_e32 v30, 1, v19
	v_add_f64 v[4:5], v[4:5], -v[14:15]
	s_mov_b32 s1, 0xbfe62e42
	s_mov_b32 s0, 0xfefa39ef
	v_xor_b32_e32 v5, 0x80000000, v5
	v_cmp_eq_u32_e32 vcc, 0, v30
	v_add_f64 v[20:21], |v[2:3]|, s[0:1]
	v_cndmask_b32_e32 v4, v4, v22, vcc
	v_cndmask_b32_e32 v5, v5, v23, vcc
	v_add_f64 v[22:23], v[20:21], -|v[2:3]|
	v_add_f64 v[24:25], v[22:23], -v[20:21]
	s_mov_b32 s29, 0x3fe62e42
	s_mov_b32 s28, s0
	v_add_f64 v[24:25], |v[2:3]|, v[24:25]
	v_add_f64 v[22:23], v[22:23], s[28:29]
	s_mov_b32 s28, 0x3b39803f
	v_add_f64 v[22:23], v[24:25], -v[22:23]
	s_mov_b32 s29, 0xbc7abc9e
	v_add_f64 v[22:23], v[22:23], s[28:29]
	v_add_f64 v[24:25], v[20:21], v[22:23]
	s_mov_b32 s28, 0x652b82fe
	v_add_f64 v[20:21], v[20:21], -v[24:25]
	s_mov_b32 s29, 0x3ff71547
	v_add_f64 v[20:21], v[22:23], v[20:21]
	v_mul_f64 v[22:23], v[24:25], s[28:29]
	v_rndne_f64_e32 v[22:23], v[22:23]
	s_mov_b32 s0, 0xfefa3000
	v_fmac_f64_e32 v[24:25], s[0:1], v[22:23]
	s_mov_b32 s0, 0xf278e000
	s_mov_b32 s1, 0xbd53de6a
	v_add_f64 v[26:27], v[20:21], v[24:25]
	v_mul_f64 v[28:29], v[22:23], s[0:1]
	v_add_f64 v[30:31], v[26:27], v[28:29]
	v_add_f64 v[24:25], v[24:25], -v[26:27]
	v_add_f64 v[20:21], v[20:21], v[24:25]
	v_add_f64 v[24:25], v[26:27], -v[30:31]
	v_add_f64 v[24:25], v[24:25], v[28:29]
	s_mov_b32 s0, 0xf97b57a0
	v_add_f64 v[20:21], v[20:21], v[24:25]
	s_mov_b32 s1, 0xbac9cc01
	v_add_f64 v[24:25], v[30:31], v[20:21]
	v_mul_f64 v[26:27], v[22:23], s[0:1]
	v_add_f64 v[28:29], v[24:25], v[26:27]
	v_add_f64 v[30:31], v[30:31], -v[24:25]
	v_add_f64 v[24:25], v[24:25], -v[28:29]
	v_add_f64 v[20:21], v[20:21], v[30:31]
	v_add_f64 v[24:25], v[24:25], v[26:27]
	;; [unrolled: 1-line block ×3, first 2 shown]
	s_mov_b32 s0, 0x6a5dcb37
	v_add_f64 v[24:25], v[28:29], v[20:21]
	v_mov_b32_e32 v32, 0xfca7ab0c
	v_mov_b32_e32 v33, 0x3e928af3
	s_mov_b32 s1, 0x3e5ade15
	v_fmac_f64_e32 v[32:33], s[0:1], v[24:25]
	v_mov_b32_e32 v34, 0x623fde64
	v_mov_b32_e32 v35, 0x3ec71dee
	v_fmac_f64_e32 v[34:35], v[24:25], v[32:33]
	v_mov_b32_e32 v32, 0x7c89e6b0
	v_mov_b32_e32 v33, 0x3efa0199
	;; [unrolled: 3-line block ×4, first 2 shown]
	v_add_f64 v[28:29], v[28:29], -v[24:25]
	v_fmac_f64_e32 v[32:33], v[24:25], v[34:35]
	v_mov_b32_e32 v34, 0x11122322
	v_mov_b32_e32 v35, 0x3f811111
	v_mul_f64 v[26:27], v[24:25], v[24:25]
	v_add_f64 v[20:21], v[20:21], v[28:29]
	v_fmac_f64_e32 v[34:35], v[24:25], v[32:33]
	v_mov_b32_e32 v32, 0x555502a1
	v_mov_b32_e32 v33, 0x3fa55555
	v_add_f64 v[28:29], v[20:21], v[20:21]
	v_fma_f64 v[30:31], v[24:25], v[24:25], -v[26:27]
	v_fmac_f64_e32 v[32:33], v[24:25], v[34:35]
	v_mov_b32_e32 v34, 0x55555511
	v_mov_b32_e32 v35, 0x3fc55555
	v_fmac_f64_e32 v[30:31], v[24:25], v[28:29]
	v_fmac_f64_e32 v[34:35], v[24:25], v[32:33]
	v_mov_b32_e32 v32, 11
	v_mov_b32_e32 v33, 0x3fe00000
	v_add_f64 v[28:29], v[26:27], v[30:31]
	v_fmac_f64_e32 v[32:33], v[24:25], v[34:35]
	v_mul_f64 v[34:35], v[28:29], v[32:33]
	v_add_f64 v[26:27], v[28:29], -v[26:27]
	v_add_f64 v[26:27], v[30:31], -v[26:27]
	v_fma_f64 v[28:29], v[28:29], v[32:33], -v[34:35]
	v_fmac_f64_e32 v[28:29], v[26:27], v[32:33]
	v_add_f64 v[26:27], v[34:35], v[28:29]
	v_add_f64 v[30:31], v[24:25], v[26:27]
	v_add_f64 v[32:33], v[26:27], -v[34:35]
	v_add_f64 v[28:29], v[28:29], -v[32:33]
	v_add_f64 v[24:25], v[30:31], -v[24:25]
	v_add_f64 v[20:21], v[20:21], v[28:29]
	v_add_f64 v[24:25], v[26:27], -v[24:25]
	v_add_f64 v[20:21], v[20:21], v[24:25]
	v_add_f64 v[24:25], v[30:31], v[20:21]
	v_add_f64 v[26:27], v[24:25], 1.0
	v_add_f64 v[28:29], v[24:25], -v[30:31]
	v_add_f64 v[20:21], v[20:21], -v[28:29]
	v_add_f64 v[28:29], v[26:27], -1.0
	v_add_f64 v[24:25], v[24:25], -v[28:29]
	v_add_f64 v[20:21], v[20:21], v[24:25]
	v_add_f64 v[24:25], v[26:27], v[20:21]
	v_cvt_i32_f64_e32 v15, v[22:23]
	v_ldexp_f64 v[22:23], v[24:25], v15
	v_rcp_f64_e32 v[28:29], v[22:23]
	v_add_f64 v[24:25], v[24:25], -v[26:27]
	v_add_f64 v[20:21], v[20:21], -v[24:25]
	v_ldexp_f64 v[20:21], v[20:21], v15
	v_fma_f64 v[30:31], -v[22:23], v[28:29], 1.0
	v_fmac_f64_e32 v[28:29], v[30:31], v[28:29]
	v_fma_f64 v[30:31], -v[22:23], v[28:29], 1.0
	v_fmac_f64_e32 v[28:29], v[30:31], v[28:29]
	v_mul_f64 v[30:31], v[22:23], v[28:29]
	v_fma_f64 v[24:25], v[28:29], v[22:23], -v[30:31]
	v_fmac_f64_e32 v[24:25], v[28:29], v[20:21]
	v_add_f64 v[26:27], v[30:31], v[24:25]
	v_add_f64 v[32:33], -v[26:27], 1.0
	v_add_f64 v[30:31], v[26:27], -v[30:31]
	v_add_f64 v[24:25], v[30:31], -v[24:25]
	v_add_f64 v[30:31], -v[32:33], 1.0
	v_add_f64 v[26:27], v[30:31], -v[26:27]
	v_add_f64 v[24:25], v[24:25], v[26:27]
	v_add_f64 v[26:27], v[32:33], v[24:25]
	v_mul_f64 v[30:31], v[28:29], v[26:27]
	v_mul_f64 v[38:39], v[22:23], v[30:31]
	v_add_f64 v[34:35], v[28:29], v[30:31]
	v_fma_f64 v[40:41], v[30:31], v[22:23], -v[38:39]
	v_add_f64 v[36:37], v[34:35], -v[28:29]
	v_fmac_f64_e32 v[40:41], v[30:31], v[20:21]
	v_add_f64 v[36:37], v[30:31], -v[36:37]
	v_add_f64 v[30:31], v[38:39], v[40:41]
	v_add_f64 v[42:43], v[26:27], -v[30:31]
	v_add_f64 v[32:33], v[32:33], -v[26:27]
	v_add_f64 v[26:27], v[26:27], -v[42:43]
	v_add_f64 v[38:39], v[30:31], -v[38:39]
	v_add_f64 v[24:25], v[24:25], v[32:33]
	v_add_f64 v[26:27], v[26:27], -v[30:31]
	v_add_f64 v[38:39], v[38:39], -v[40:41]
	v_add_f64 v[24:25], v[24:25], v[26:27]
	v_add_f64 v[24:25], v[38:39], v[24:25]
	;; [unrolled: 1-line block ×3, first 2 shown]
	v_mul_f64 v[24:25], v[28:29], v[24:25]
	v_add_f64 v[24:25], v[36:37], v[24:25]
	v_add_f64 v[26:27], v[34:35], v[24:25]
	v_ldexp_f64 v[28:29], v[26:27], -2
	v_add_f64 v[26:27], v[26:27], -v[34:35]
	v_add_f64 v[30:31], v[22:23], v[28:29]
	v_add_f64 v[24:25], v[24:25], -v[26:27]
	v_ldexp_f64 v[24:25], v[24:25], -2
	v_add_f64 v[32:33], v[30:31], -v[22:23]
	v_lshlrev_b32_e32 v14, 30, v19
	s_mov_b32 s0, 0x8fb9f87e
	v_add_f64 v[26:27], v[20:21], v[24:25]
	v_add_f64 v[32:33], v[28:29], -v[32:33]
	s_movk_i32 s27, 0x1f8
	v_and_b32_e32 v14, 0x80000000, v14
	s_mov_b32 s1, 0x408633ce
	v_add_f64 v[26:27], v[26:27], v[32:33]
	v_xor_b32_e32 v5, v5, v14
	v_cmp_class_f64_e64 vcc, v[0:1], s27
	v_mov_b32_e32 v14, 0x7ff80000
	v_add_f64 v[26:27], v[30:31], v[26:27]
	v_mov_b32_e32 v15, 0x7ff00000
	v_cmp_ge_f64_e64 s[0:1], |v[2:3]|, s[0:1]
	v_cndmask_b32_e32 v4, 0, v4, vcc
	v_cndmask_b32_e32 v5, v14, v5, vcc
	v_cndmask_b32_e64 v27, v27, v15, s[0:1]
	v_cndmask_b32_e64 v26, v26, 0, s[0:1]
	v_mul_f64 v[4:5], v[26:27], v[4:5]
	v_mul_f64 v[26:27], v[6:7], v[6:7]
	v_mul_f64 v[30:31], v[26:27], 0.5
	v_fmac_f64_e32 v[10:11], s[2:3], v[26:27]
	v_add_f64 v[32:33], -v[30:31], 1.0
	v_fma_f64 v[10:11], v[26:27], v[10:11], s[4:5]
	v_add_f64 v[34:35], -v[32:33], 1.0
	v_fma_f64 v[10:11], v[26:27], v[10:11], s[6:7]
	v_add_f64 v[30:31], v[34:35], -v[30:31]
	v_fma_f64 v[10:11], v[26:27], v[10:11], s[8:9]
	v_fmac_f64_e32 v[16:17], s[16:17], v[26:27]
	v_mul_f64 v[34:35], v[26:27], v[26:27]
	v_fma_f64 v[10:11], v[26:27], v[10:11], s[14:15]
	v_fma_f64 v[30:31], v[6:7], -v[8:9], v[30:31]
	v_fma_f64 v[16:17], v[26:27], v[16:17], s[18:19]
	v_fmac_f64_e32 v[30:31], v[34:35], v[10:11]
	v_fma_f64 v[16:17], v[26:27], v[16:17], s[20:21]
	v_add_f64 v[10:11], v[32:33], v[30:31]
	v_fma_f64 v[16:17], v[26:27], v[16:17], s[22:23]
	v_mul_f64 v[30:31], v[6:7], -v[26:27]
	v_mul_f64 v[32:33], v[8:9], 0.5
	v_fmac_f64_e32 v[32:33], v[30:31], v[16:17]
	v_fma_f64 v[8:9], v[26:27], v[32:33], -v[8:9]
	v_fmac_f64_e32 v[8:9], s[24:25], v[30:31]
	v_add_f64 v[6:7], v[6:7], -v[8:9]
	v_and_b32_e32 v8, 1, v18
	v_cmp_eq_u32_e64 s[2:3], 0, v8
	v_lshlrev_b32_e32 v8, 30, v18
	v_xor_b32_e32 v8, v8, v1
	v_cndmask_b32_e64 v7, v11, v7, s[2:3]
	v_and_b32_e32 v8, 0x80000000, v8
	v_xor_b32_e32 v7, v7, v8
	v_add_f64 v[8:9], v[22:23], -v[28:29]
	v_cndmask_b32_e64 v6, v10, v6, s[2:3]
	v_add_f64 v[10:11], v[22:23], -v[8:9]
	v_add_f64 v[10:11], v[10:11], -v[28:29]
	v_add_f64 v[10:11], v[20:21], v[10:11]
	v_add_f64 v[10:11], v[10:11], -v[24:25]
	v_add_f64 v[8:9], v[8:9], v[10:11]
	v_cndmask_b32_e64 v9, v9, v15, s[0:1]
	v_cndmask_b32_e64 v8, v8, 0, s[0:1]
	s_mov_b32 s0, 0
	s_mov_b32 s1, 0x3e400000
	v_and_b32_e32 v19, 0x7fffffff, v3
	v_cndmask_b32_e32 v6, 0, v6, vcc
	v_cndmask_b32_e32 v7, v14, v7, vcc
	v_cmp_lt_f64_e64 vcc, |v[2:3]|, s[0:1]
	s_brev_b32 s27, -2
	v_cndmask_b32_e32 v9, v9, v19, vcc
	v_cndmask_b32_e32 v8, v8, v2, vcc
	v_bfi_b32 v9, s27, v9, v3
	v_mul_f64 v[6:7], v[8:9], -v[6:7]
	s_cbranch_execnz .LBB1_26
.LBB1_17:
	s_mov_b32 s0, 0
	s_mov_b32 s1, 0x41d00000
	s_waitcnt vmcnt(0)
	v_cmp_nlt_f64_e64 s[2:3], |v[0:1]|, s[0:1]
	v_trig_preop_f64 v[18:19], |v[0:1]|, 0
	v_trig_preop_f64 v[16:17], |v[0:1]|, 1
	;; [unrolled: 1-line block ×3, first 2 shown]
                                        ; implicit-def: $vgpr21
                                        ; implicit-def: $vgpr4_vgpr5
                                        ; implicit-def: $vgpr14_vgpr15
	s_and_saveexec_b64 s[0:1], s[2:3]
	s_xor_b64 s[4:5], exec, s[0:1]
	s_cbranch_execz .LBB1_19
; %bb.18:
	s_mov_b32 s0, 0
	s_mov_b32 s1, 0x7b000000
	s_movk_i32 s6, 0xff80
	v_and_b32_e32 v6, 0x7fffffff, v1
	v_ldexp_f64 v[4:5], |v[0:1]|, s6
	v_cmp_ge_f64_e64 vcc, |v[0:1]|, s[0:1]
	v_cndmask_b32_e32 v5, v6, v5, vcc
	v_cndmask_b32_e32 v4, v0, v4, vcc
	v_mul_f64 v[8:9], v[18:19], v[4:5]
	v_mul_f64 v[6:7], v[16:17], v[4:5]
	v_fma_f64 v[14:15], v[18:19], v[4:5], -v[8:9]
	v_add_f64 v[20:21], v[6:7], v[14:15]
	v_add_f64 v[22:23], v[8:9], v[20:21]
	s_mov_b32 s0, 0
	v_ldexp_f64 v[24:25], v[22:23], -2
	s_mov_b32 s1, 0x7ff00000
	v_fract_f64_e32 v[26:27], v[24:25]
	v_cmp_neq_f64_e64 vcc, |v[24:25]|, s[0:1]
	v_cndmask_b32_e32 v25, 0, v27, vcc
	v_cndmask_b32_e32 v24, 0, v26, vcc
	v_add_f64 v[26:27], v[20:21], -v[6:7]
	v_add_f64 v[14:15], v[14:15], -v[26:27]
	;; [unrolled: 1-line block ×4, first 2 shown]
	v_add_f64 v[14:15], v[14:15], v[26:27]
	v_fma_f64 v[6:7], v[16:17], v[4:5], -v[6:7]
	v_mul_f64 v[26:27], v[10:11], v[4:5]
	v_add_f64 v[30:31], v[26:27], v[6:7]
	v_add_f64 v[32:33], v[30:31], v[14:15]
	v_add_f64 v[8:9], v[22:23], -v[8:9]
	v_add_f64 v[22:23], v[32:33], -v[30:31]
	;; [unrolled: 1-line block ×5, first 2 shown]
	v_add_f64 v[14:15], v[14:15], v[22:23]
	v_add_f64 v[22:23], v[30:31], -v[26:27]
	v_add_f64 v[6:7], v[6:7], -v[22:23]
	;; [unrolled: 1-line block ×5, first 2 shown]
	v_add_f64 v[20:21], v[8:9], v[32:33]
	v_add_f64 v[6:7], v[6:7], v[22:23]
	v_add_f64 v[8:9], v[20:21], -v[8:9]
	v_add_f64 v[6:7], v[6:7], v[14:15]
	v_fma_f64 v[4:5], v[10:11], v[4:5], -v[26:27]
	v_add_f64 v[8:9], v[32:33], -v[8:9]
	v_add_f64 v[4:5], v[4:5], v[6:7]
	v_ldexp_f64 v[6:7], v[24:25], 2
	v_add_f64 v[4:5], v[8:9], v[4:5]
	v_add_f64 v[8:9], v[20:21], v[6:7]
	v_mov_b32_e32 v14, 0x40100000
	v_cmp_gt_f64_e32 vcc, 0, v[8:9]
	v_mov_b32_e32 v28, 0
	v_cndmask_b32_e32 v29, 0, v14, vcc
	v_add_f64 v[6:7], v[6:7], v[28:29]
	v_add_f64 v[8:9], v[20:21], v[6:7]
	v_cvt_i32_f64_e32 v14, v[8:9]
	v_cvt_f64_i32_e32 v[8:9], v14
	v_add_f64 v[6:7], v[6:7], -v[8:9]
	v_add_f64 v[8:9], v[20:21], v[6:7]
	v_add_f64 v[6:7], v[8:9], -v[6:7]
	v_add_f64 v[6:7], v[20:21], -v[6:7]
	v_add_f64 v[4:5], v[4:5], v[6:7]
	v_cmp_le_f64_e32 vcc, 0.5, v[8:9]
	v_mov_b32_e32 v6, 0x3ff00000
	v_cndmask_b32_e32 v29, 0, v6, vcc
	v_addc_co_u32_e64 v21, s[0:1], 0, v14, vcc
	v_add_f64 v[6:7], v[8:9], -v[28:29]
	v_add_f64 v[8:9], v[6:7], v[4:5]
	s_mov_b32 s0, 0x54442d18
	v_add_f64 v[6:7], v[8:9], -v[6:7]
	s_mov_b32 s1, 0x3ff921fb
	v_add_f64 v[4:5], v[4:5], -v[6:7]
	v_mul_f64 v[6:7], v[8:9], s[0:1]
	s_mov_b32 s6, 0x33145c07
	v_fma_f64 v[14:15], v[8:9], s[0:1], -v[6:7]
	s_mov_b32 s7, 0x3c91a626
	v_fmac_f64_e32 v[14:15], s[6:7], v[8:9]
	v_fmac_f64_e32 v[14:15], s[0:1], v[4:5]
	v_add_f64 v[4:5], v[6:7], v[14:15]
	v_add_f64 v[6:7], v[4:5], -v[6:7]
	v_add_f64 v[14:15], v[14:15], -v[6:7]
	s_andn2_saveexec_b64 s[0:1], s[4:5]
	s_cbranch_execz .LBB1_21
	s_branch .LBB1_20
.LBB1_19:
	s_andn2_saveexec_b64 s[0:1], s[4:5]
	s_cbranch_execz .LBB1_21
.LBB1_20:
	s_mov_b32 s4, 0x6dc9c883
	s_mov_b32 s5, 0x3fe45f30
	v_mul_f64 v[4:5], |v[0:1]|, s[4:5]
	s_mov_b32 s4, 0x54442d18
	v_rndne_f64_e32 v[6:7], v[4:5]
	s_mov_b32 s5, 0xbff921fb
	v_fma_f64 v[4:5], v[6:7], s[4:5], |v[0:1]|
	s_mov_b32 s5, 0xbc91a626
	s_mov_b32 s4, 0x33145c00
	v_mul_f64 v[14:15], v[6:7], s[4:5]
	v_add_f64 v[22:23], v[4:5], v[14:15]
	v_fma_f64 v[8:9], s[4:5], v[6:7], v[4:5]
	s_mov_b32 s5, 0x3c91a626
	v_add_f64 v[4:5], v[4:5], -v[22:23]
	v_fma_f64 v[20:21], s[4:5], v[6:7], v[14:15]
	v_add_f64 v[4:5], v[4:5], v[14:15]
	v_add_f64 v[14:15], v[22:23], -v[8:9]
	v_add_f64 v[4:5], v[14:15], v[4:5]
	s_mov_b32 s4, 0x252049c0
	v_add_f64 v[14:15], v[4:5], -v[20:21]
	s_mov_b32 s5, 0xb97b839a
	v_fmac_f64_e32 v[14:15], s[4:5], v[6:7]
	v_add_f64 v[4:5], v[8:9], v[14:15]
	v_add_f64 v[8:9], v[4:5], -v[8:9]
	v_add_f64 v[14:15], v[14:15], -v[8:9]
	v_cvt_i32_f64_e32 v21, v[6:7]
.LBB1_21:
	s_or_b64 exec, exec, s[0:1]
                                        ; implicit-def: $vgpr20
                                        ; implicit-def: $vgpr6_vgpr7
                                        ; implicit-def: $vgpr8_vgpr9
	s_and_saveexec_b64 s[0:1], s[2:3]
	s_xor_b64 s[2:3], exec, s[0:1]
	s_cbranch_execz .LBB1_23
; %bb.22:
	s_mov_b32 s0, 0
	s_mov_b32 s1, 0x7b000000
	s_movk_i32 s4, 0xff80
	v_and_b32_e32 v8, 0x7fffffff, v1
	v_ldexp_f64 v[6:7], |v[0:1]|, s4
	v_cmp_ge_f64_e64 vcc, |v[0:1]|, s[0:1]
	v_cndmask_b32_e32 v7, v8, v7, vcc
	v_cndmask_b32_e32 v6, v0, v6, vcc
	v_mul_f64 v[22:23], v[18:19], v[6:7]
	v_mul_f64 v[8:9], v[16:17], v[6:7]
	v_fma_f64 v[18:19], v[18:19], v[6:7], -v[22:23]
	v_add_f64 v[24:25], v[8:9], v[18:19]
	v_add_f64 v[26:27], v[22:23], v[24:25]
	s_mov_b32 s0, 0
	v_ldexp_f64 v[28:29], v[26:27], -2
	s_mov_b32 s1, 0x7ff00000
	v_fract_f64_e32 v[30:31], v[28:29]
	v_cmp_neq_f64_e64 vcc, |v[28:29]|, s[0:1]
	v_cndmask_b32_e32 v29, 0, v31, vcc
	v_cndmask_b32_e32 v28, 0, v30, vcc
	v_add_f64 v[30:31], v[24:25], -v[8:9]
	v_add_f64 v[18:19], v[18:19], -v[30:31]
	v_add_f64 v[30:31], v[24:25], -v[30:31]
	v_add_f64 v[30:31], v[8:9], -v[30:31]
	v_fma_f64 v[8:9], v[16:17], v[6:7], -v[8:9]
	v_mul_f64 v[16:17], v[10:11], v[6:7]
	v_add_f64 v[18:19], v[18:19], v[30:31]
	v_add_f64 v[30:31], v[16:17], v[8:9]
	;; [unrolled: 1-line block ×3, first 2 shown]
	v_add_f64 v[22:23], v[26:27], -v[22:23]
	v_add_f64 v[26:27], v[34:35], -v[30:31]
	;; [unrolled: 1-line block ×5, first 2 shown]
	v_add_f64 v[18:19], v[18:19], v[26:27]
	v_add_f64 v[26:27], v[30:31], -v[16:17]
	v_add_f64 v[8:9], v[8:9], -v[26:27]
	;; [unrolled: 1-line block ×4, first 2 shown]
	v_add_f64 v[8:9], v[8:9], v[26:27]
	v_add_f64 v[22:23], v[24:25], -v[22:23]
	v_add_f64 v[8:9], v[8:9], v[18:19]
	v_fma_f64 v[6:7], v[10:11], v[6:7], -v[16:17]
	v_add_f64 v[24:25], v[22:23], v[34:35]
	v_add_f64 v[6:7], v[6:7], v[8:9]
	v_ldexp_f64 v[8:9], v[28:29], 2
	v_add_f64 v[10:11], v[24:25], v[8:9]
	v_mov_b32_e32 v16, 0x40100000
	v_cmp_gt_f64_e32 vcc, 0, v[10:11]
	v_mov_b32_e32 v32, 0
	v_cndmask_b32_e32 v33, 0, v16, vcc
	v_add_f64 v[8:9], v[8:9], v[32:33]
	v_add_f64 v[10:11], v[24:25], v[8:9]
	v_cvt_i32_f64_e32 v16, v[10:11]
	v_cvt_f64_i32_e32 v[10:11], v16
	v_add_f64 v[8:9], v[8:9], -v[10:11]
	v_add_f64 v[22:23], v[24:25], -v[22:23]
	v_add_f64 v[10:11], v[24:25], v[8:9]
	v_add_f64 v[22:23], v[34:35], -v[22:23]
	v_add_f64 v[8:9], v[10:11], -v[8:9]
	v_add_f64 v[6:7], v[22:23], v[6:7]
	v_add_f64 v[8:9], v[24:25], -v[8:9]
	v_add_f64 v[6:7], v[6:7], v[8:9]
	v_cmp_le_f64_e32 vcc, 0.5, v[10:11]
	v_mov_b32_e32 v8, 0x3ff00000
	v_cndmask_b32_e32 v33, 0, v8, vcc
	v_addc_co_u32_e64 v20, s[0:1], 0, v16, vcc
	v_add_f64 v[8:9], v[10:11], -v[32:33]
	v_add_f64 v[10:11], v[8:9], v[6:7]
	s_mov_b32 s0, 0x54442d18
	v_add_f64 v[8:9], v[10:11], -v[8:9]
	s_mov_b32 s1, 0x3ff921fb
	v_add_f64 v[6:7], v[6:7], -v[8:9]
	v_mul_f64 v[8:9], v[10:11], s[0:1]
	s_mov_b32 s4, 0x33145c07
	v_fma_f64 v[16:17], v[10:11], s[0:1], -v[8:9]
	s_mov_b32 s5, 0x3c91a626
	v_fmac_f64_e32 v[16:17], s[4:5], v[10:11]
	v_fmac_f64_e32 v[16:17], s[0:1], v[6:7]
	v_add_f64 v[6:7], v[8:9], v[16:17]
	v_add_f64 v[8:9], v[6:7], -v[8:9]
	v_add_f64 v[8:9], v[16:17], -v[8:9]
	s_andn2_saveexec_b64 s[0:1], s[2:3]
	s_cbranch_execnz .LBB1_24
	s_branch .LBB1_25
.LBB1_23:
	s_andn2_saveexec_b64 s[0:1], s[2:3]
	s_cbranch_execz .LBB1_25
.LBB1_24:
	s_mov_b32 s2, 0x6dc9c883
	s_mov_b32 s3, 0x3fe45f30
	v_mul_f64 v[6:7], |v[0:1]|, s[2:3]
	s_mov_b32 s2, 0x54442d18
	v_rndne_f64_e32 v[10:11], v[6:7]
	s_mov_b32 s3, 0xbff921fb
	v_fma_f64 v[6:7], v[10:11], s[2:3], |v[0:1]|
	s_mov_b32 s3, 0xbc91a626
	s_mov_b32 s2, 0x33145c00
	v_mul_f64 v[16:17], v[10:11], s[2:3]
	v_add_f64 v[22:23], v[6:7], v[16:17]
	v_fma_f64 v[8:9], s[2:3], v[10:11], v[6:7]
	s_mov_b32 s3, 0x3c91a626
	v_add_f64 v[6:7], v[6:7], -v[22:23]
	v_fma_f64 v[18:19], s[2:3], v[10:11], v[16:17]
	v_add_f64 v[6:7], v[6:7], v[16:17]
	v_add_f64 v[16:17], v[22:23], -v[8:9]
	v_add_f64 v[6:7], v[16:17], v[6:7]
	s_mov_b32 s2, 0x252049c0
	v_add_f64 v[16:17], v[6:7], -v[18:19]
	s_mov_b32 s3, 0xb97b839a
	v_fmac_f64_e32 v[16:17], s[2:3], v[10:11]
	v_add_f64 v[6:7], v[8:9], v[16:17]
	v_add_f64 v[8:9], v[6:7], -v[8:9]
	v_add_f64 v[8:9], v[16:17], -v[8:9]
	v_cvt_i32_f64_e32 v20, v[10:11]
.LBB1_25:
	s_or_b64 exec, exec, s[0:1]
	s_mov_b32 s0, 0xb42fdfa7
	s_mov_b32 s1, 0xbe5ae600
	;; [unrolled: 1-line block ×3, first 2 shown]
	v_mul_f64 v[18:19], v[4:5], v[4:5]
	s_mov_b32 s3, 0x3de5e0b2
	v_pk_mov_b32 v[10:11], s[0:1], s[0:1] op_sel:[0,1]
	s_mov_b32 s4, 0x796cde01
	v_fma_f64 v[22:23], s[2:3], v[18:19], v[10:11]
	s_mov_b32 s5, 0x3ec71de3
	s_mov_b32 s6, 0x19e83e5c
	v_fma_f64 v[22:23], v[18:19], v[22:23], s[4:5]
	s_mov_b32 s7, 0xbf2a01a0
	;; [unrolled: 3-line block ×3, first 2 shown]
	v_mul_f64 v[16:17], v[4:5], -v[18:19]
	v_fma_f64 v[22:23], v[18:19], v[22:23], s[8:9]
	v_mul_f64 v[24:25], v[14:15], 0.5
	v_fmac_f64_e32 v[24:25], v[16:17], v[22:23]
	s_mov_b32 s14, 0x55555555
	s_mov_b32 s0, 0x9037ab78
	v_fma_f64 v[22:23], v[18:19], v[24:25], -v[14:15]
	s_mov_b32 s15, 0xbfc55555
	s_mov_b32 s1, 0x3e21eeb6
	;; [unrolled: 1-line block ×3, first 2 shown]
	v_fmac_f64_e32 v[22:23], s[14:15], v[16:17]
	s_mov_b32 s17, 0xbda907db
	v_pk_mov_b32 v[16:17], s[0:1], s[0:1] op_sel:[0,1]
	s_mov_b32 s18, 0xa17f65f6
	v_fma_f64 v[30:31], s[16:17], v[18:19], v[16:17]
	s_mov_b32 s19, 0xbe927e4f
	s_mov_b32 s20, 0x19f4ec90
	v_fma_f64 v[30:31], v[18:19], v[30:31], s[18:19]
	s_mov_b32 s21, 0x3efa01a0
	s_mov_b32 s22, 0x16c16967
	v_mul_f64 v[24:25], v[18:19], 0.5
	v_fma_f64 v[30:31], v[18:19], v[30:31], s[20:21]
	s_mov_b32 s23, 0xbf56c16c
	v_add_f64 v[26:27], -v[24:25], 1.0
	v_fma_f64 v[30:31], v[18:19], v[30:31], s[22:23]
	s_mov_b32 s25, 0x3fa55555
	s_mov_b32 s24, s14
	v_mul_f64 v[28:29], v[18:19], v[18:19]
	v_fma_f64 v[18:19], v[18:19], v[30:31], s[24:25]
	v_add_f64 v[30:31], -v[26:27], 1.0
	v_add_f64 v[24:25], v[30:31], -v[24:25]
	v_add_f64 v[22:23], v[4:5], -v[22:23]
	v_fma_f64 v[4:5], v[4:5], -v[14:15], v[24:25]
	v_and_b32_e32 v32, 1, v21
	v_fmac_f64_e32 v[4:5], v[28:29], v[18:19]
	s_mov_b32 s1, 0xbfe62e42
	s_mov_b32 s0, 0xfefa39ef
	v_add_f64 v[4:5], v[26:27], v[4:5]
	v_cmp_eq_u32_e32 vcc, 0, v32
	v_add_f64 v[18:19], |v[2:3]|, s[0:1]
	v_cndmask_b32_e32 v4, v4, v22, vcc
	v_cndmask_b32_e32 v5, v5, v23, vcc
	v_add_f64 v[22:23], v[18:19], -|v[2:3]|
	v_add_f64 v[24:25], v[22:23], -v[18:19]
	s_mov_b32 s29, 0x3fe62e42
	s_mov_b32 s28, s0
	v_add_f64 v[24:25], |v[2:3]|, v[24:25]
	v_add_f64 v[22:23], v[22:23], s[28:29]
	s_mov_b32 s28, 0x3b39803f
	v_add_f64 v[22:23], v[24:25], -v[22:23]
	s_mov_b32 s29, 0xbc7abc9e
	v_add_f64 v[22:23], v[22:23], s[28:29]
	v_add_f64 v[24:25], v[18:19], v[22:23]
	s_mov_b32 s28, 0x652b82fe
	v_add_f64 v[18:19], v[18:19], -v[24:25]
	s_mov_b32 s29, 0x3ff71547
	v_add_f64 v[18:19], v[22:23], v[18:19]
	v_mul_f64 v[22:23], v[24:25], s[28:29]
	v_rndne_f64_e32 v[22:23], v[22:23]
	s_mov_b32 s0, 0xfefa3000
	v_fmac_f64_e32 v[24:25], s[0:1], v[22:23]
	s_mov_b32 s0, 0xf278e000
	s_mov_b32 s1, 0xbd53de6a
	v_add_f64 v[26:27], v[18:19], v[24:25]
	v_mul_f64 v[28:29], v[22:23], s[0:1]
	v_add_f64 v[30:31], v[26:27], v[28:29]
	v_add_f64 v[24:25], v[24:25], -v[26:27]
	v_add_f64 v[18:19], v[18:19], v[24:25]
	v_add_f64 v[24:25], v[26:27], -v[30:31]
	v_add_f64 v[24:25], v[24:25], v[28:29]
	s_mov_b32 s0, 0xf97b57a0
	v_add_f64 v[18:19], v[18:19], v[24:25]
	s_mov_b32 s1, 0xbac9cc01
	v_add_f64 v[24:25], v[30:31], v[18:19]
	v_mul_f64 v[26:27], v[22:23], s[0:1]
	v_add_f64 v[28:29], v[24:25], v[26:27]
	v_add_f64 v[30:31], v[30:31], -v[24:25]
	v_add_f64 v[24:25], v[24:25], -v[28:29]
	v_add_f64 v[18:19], v[18:19], v[30:31]
	v_add_f64 v[24:25], v[24:25], v[26:27]
	;; [unrolled: 1-line block ×3, first 2 shown]
	s_mov_b32 s0, 0x6a5dcb37
	v_add_f64 v[24:25], v[28:29], v[18:19]
	v_mov_b32_e32 v32, 0xfca7ab0c
	v_mov_b32_e32 v33, 0x3e928af3
	s_mov_b32 s1, 0x3e5ade15
	v_fmac_f64_e32 v[32:33], s[0:1], v[24:25]
	v_mov_b32_e32 v34, 0x623fde64
	v_mov_b32_e32 v35, 0x3ec71dee
	v_fmac_f64_e32 v[34:35], v[24:25], v[32:33]
	v_mov_b32_e32 v32, 0x7c89e6b0
	v_mov_b32_e32 v33, 0x3efa0199
	;; [unrolled: 3-line block ×4, first 2 shown]
	v_add_f64 v[28:29], v[28:29], -v[24:25]
	v_fmac_f64_e32 v[32:33], v[24:25], v[34:35]
	v_mov_b32_e32 v34, 0x11122322
	v_mov_b32_e32 v35, 0x3f811111
	v_mul_f64 v[26:27], v[24:25], v[24:25]
	v_add_f64 v[18:19], v[18:19], v[28:29]
	v_fmac_f64_e32 v[34:35], v[24:25], v[32:33]
	v_mov_b32_e32 v32, 0x555502a1
	v_mov_b32_e32 v33, 0x3fa55555
	v_add_f64 v[28:29], v[18:19], v[18:19]
	v_fma_f64 v[30:31], v[24:25], v[24:25], -v[26:27]
	v_fmac_f64_e32 v[32:33], v[24:25], v[34:35]
	v_mov_b32_e32 v34, 0x55555511
	v_mov_b32_e32 v35, 0x3fc55555
	v_fmac_f64_e32 v[30:31], v[24:25], v[28:29]
	v_fmac_f64_e32 v[34:35], v[24:25], v[32:33]
	v_mov_b32_e32 v32, 11
	v_mov_b32_e32 v33, 0x3fe00000
	v_add_f64 v[28:29], v[26:27], v[30:31]
	v_fmac_f64_e32 v[32:33], v[24:25], v[34:35]
	v_mul_f64 v[34:35], v[28:29], v[32:33]
	v_add_f64 v[26:27], v[28:29], -v[26:27]
	v_add_f64 v[26:27], v[30:31], -v[26:27]
	v_fma_f64 v[28:29], v[28:29], v[32:33], -v[34:35]
	v_fmac_f64_e32 v[28:29], v[26:27], v[32:33]
	v_add_f64 v[26:27], v[34:35], v[28:29]
	v_add_f64 v[30:31], v[24:25], v[26:27]
	v_add_f64 v[32:33], v[26:27], -v[34:35]
	v_add_f64 v[28:29], v[28:29], -v[32:33]
	;; [unrolled: 1-line block ×3, first 2 shown]
	v_add_f64 v[18:19], v[18:19], v[28:29]
	v_add_f64 v[24:25], v[26:27], -v[24:25]
	v_add_f64 v[18:19], v[18:19], v[24:25]
	v_add_f64 v[24:25], v[30:31], v[18:19]
	v_add_f64 v[26:27], v[24:25], 1.0
	v_add_f64 v[28:29], v[24:25], -v[30:31]
	v_add_f64 v[18:19], v[18:19], -v[28:29]
	v_add_f64 v[28:29], v[26:27], -1.0
	v_add_f64 v[24:25], v[24:25], -v[28:29]
	v_add_f64 v[18:19], v[18:19], v[24:25]
	v_add_f64 v[24:25], v[26:27], v[18:19]
	v_cvt_i32_f64_e32 v15, v[22:23]
	v_ldexp_f64 v[22:23], v[24:25], v15
	v_rcp_f64_e32 v[28:29], v[22:23]
	v_add_f64 v[24:25], v[24:25], -v[26:27]
	v_add_f64 v[18:19], v[18:19], -v[24:25]
	v_ldexp_f64 v[18:19], v[18:19], v15
	v_fma_f64 v[30:31], -v[22:23], v[28:29], 1.0
	v_fmac_f64_e32 v[28:29], v[30:31], v[28:29]
	v_fma_f64 v[30:31], -v[22:23], v[28:29], 1.0
	v_fmac_f64_e32 v[28:29], v[30:31], v[28:29]
	v_mul_f64 v[30:31], v[22:23], v[28:29]
	v_fma_f64 v[24:25], v[28:29], v[22:23], -v[30:31]
	v_fmac_f64_e32 v[24:25], v[28:29], v[18:19]
	v_add_f64 v[26:27], v[30:31], v[24:25]
	v_add_f64 v[32:33], -v[26:27], 1.0
	v_add_f64 v[30:31], v[26:27], -v[30:31]
	v_add_f64 v[24:25], v[30:31], -v[24:25]
	v_add_f64 v[30:31], -v[32:33], 1.0
	v_add_f64 v[26:27], v[30:31], -v[26:27]
	v_add_f64 v[24:25], v[24:25], v[26:27]
	v_add_f64 v[26:27], v[32:33], v[24:25]
	v_mul_f64 v[30:31], v[28:29], v[26:27]
	v_mul_f64 v[38:39], v[22:23], v[30:31]
	v_add_f64 v[34:35], v[28:29], v[30:31]
	v_fma_f64 v[40:41], v[30:31], v[22:23], -v[38:39]
	v_add_f64 v[36:37], v[34:35], -v[28:29]
	v_fmac_f64_e32 v[40:41], v[30:31], v[18:19]
	v_add_f64 v[36:37], v[30:31], -v[36:37]
	v_add_f64 v[30:31], v[38:39], v[40:41]
	v_add_f64 v[42:43], v[26:27], -v[30:31]
	v_add_f64 v[32:33], v[32:33], -v[26:27]
	;; [unrolled: 1-line block ×4, first 2 shown]
	v_add_f64 v[24:25], v[24:25], v[32:33]
	v_add_f64 v[26:27], v[26:27], -v[30:31]
	v_add_f64 v[38:39], v[38:39], -v[40:41]
	v_add_f64 v[24:25], v[24:25], v[26:27]
	v_add_f64 v[24:25], v[38:39], v[24:25]
	;; [unrolled: 1-line block ×3, first 2 shown]
	v_mul_f64 v[24:25], v[28:29], v[24:25]
	v_add_f64 v[24:25], v[36:37], v[24:25]
	v_add_f64 v[26:27], v[34:35], v[24:25]
	v_ldexp_f64 v[28:29], v[26:27], -2
	v_add_f64 v[26:27], v[26:27], -v[34:35]
	v_add_f64 v[30:31], v[22:23], v[28:29]
	v_add_f64 v[24:25], v[24:25], -v[26:27]
	v_lshlrev_b32_e32 v14, 30, v21
	v_ldexp_f64 v[24:25], v[24:25], -2
	v_add_f64 v[32:33], v[30:31], -v[22:23]
	v_xor_b32_e32 v14, v14, v1
	s_mov_b32 s0, 0x8fb9f87e
	v_add_f64 v[26:27], v[18:19], v[24:25]
	v_add_f64 v[32:33], v[28:29], -v[32:33]
	s_movk_i32 s27, 0x1f8
	v_and_b32_e32 v14, 0x80000000, v14
	s_mov_b32 s1, 0x408633ce
	v_add_f64 v[26:27], v[26:27], v[32:33]
	v_xor_b32_e32 v5, v5, v14
	v_cmp_class_f64_e64 vcc, v[0:1], s27
	v_mov_b32_e32 v14, 0x7ff80000
	v_add_f64 v[26:27], v[30:31], v[26:27]
	v_mov_b32_e32 v15, 0x7ff00000
	v_cmp_ge_f64_e64 s[0:1], |v[2:3]|, s[0:1]
	v_cndmask_b32_e32 v4, 0, v4, vcc
	v_cndmask_b32_e32 v5, v14, v5, vcc
	v_cndmask_b32_e64 v27, v27, v15, s[0:1]
	v_cndmask_b32_e64 v26, v26, 0, s[0:1]
	v_mul_f64 v[4:5], v[26:27], v[4:5]
	v_mul_f64 v[26:27], v[6:7], v[6:7]
	v_mul_f64 v[30:31], v[26:27], 0.5
	v_fmac_f64_e32 v[16:17], s[16:17], v[26:27]
	v_add_f64 v[32:33], -v[30:31], 1.0
	v_fma_f64 v[16:17], v[26:27], v[16:17], s[18:19]
	v_add_f64 v[34:35], -v[32:33], 1.0
	v_fma_f64 v[16:17], v[26:27], v[16:17], s[20:21]
	v_add_f64 v[30:31], v[34:35], -v[30:31]
	v_fma_f64 v[16:17], v[26:27], v[16:17], s[22:23]
	v_fmac_f64_e32 v[10:11], s[2:3], v[26:27]
	v_mul_f64 v[34:35], v[26:27], v[26:27]
	v_fma_f64 v[16:17], v[26:27], v[16:17], s[24:25]
	v_fma_f64 v[30:31], v[6:7], -v[8:9], v[30:31]
	v_fma_f64 v[10:11], v[26:27], v[10:11], s[4:5]
	v_fmac_f64_e32 v[30:31], v[34:35], v[16:17]
	v_fma_f64 v[10:11], v[26:27], v[10:11], s[6:7]
	v_add_f64 v[16:17], v[32:33], v[30:31]
	v_fma_f64 v[10:11], v[26:27], v[10:11], s[8:9]
	v_mul_f64 v[30:31], v[6:7], -v[26:27]
	v_mul_f64 v[32:33], v[8:9], 0.5
	v_fmac_f64_e32 v[32:33], v[30:31], v[10:11]
	v_fma_f64 v[8:9], v[26:27], v[32:33], -v[8:9]
	v_fmac_f64_e32 v[8:9], s[14:15], v[30:31]
	v_add_f64 v[6:7], v[6:7], -v[8:9]
	v_and_b32_e32 v8, 1, v20
	v_xor_b32_e32 v7, 0x80000000, v7
	v_cmp_eq_u32_e64 s[2:3], 0, v8
	v_lshlrev_b32_e32 v8, 30, v20
	v_cndmask_b32_e64 v7, v7, v17, s[2:3]
	v_and_b32_e32 v8, 0x80000000, v8
	v_xor_b32_e32 v7, v7, v8
	v_add_f64 v[8:9], v[22:23], -v[28:29]
	v_add_f64 v[10:11], v[22:23], -v[8:9]
	;; [unrolled: 1-line block ×3, first 2 shown]
	v_add_f64 v[10:11], v[18:19], v[10:11]
	v_add_f64 v[10:11], v[10:11], -v[24:25]
	v_add_f64 v[8:9], v[8:9], v[10:11]
	v_cndmask_b32_e64 v9, v9, v15, s[0:1]
	v_cndmask_b32_e64 v8, v8, 0, s[0:1]
	s_mov_b32 s0, 0
	v_cndmask_b32_e64 v6, v6, v16, s[2:3]
	s_mov_b32 s1, 0x3e400000
	v_and_b32_e32 v21, 0x7fffffff, v3
	v_cndmask_b32_e32 v6, 0, v6, vcc
	v_cndmask_b32_e32 v7, v14, v7, vcc
	v_cmp_lt_f64_e64 vcc, |v[2:3]|, s[0:1]
	s_brev_b32 s27, -2
	v_cndmask_b32_e32 v9, v9, v21, vcc
	v_cndmask_b32_e32 v8, v8, v2, vcc
	v_bfi_b32 v9, s27, v9, v3
	v_mul_f64 v[6:7], v[8:9], v[6:7]
.LBB1_26:
	s_cbranch_execnz .LBB1_34
.LBB1_27:
	s_cmp_gt_i32 s26, 4
	s_waitcnt vmcnt(0)
	v_cmp_lt_f64_e64 s[0:1], |v[0:1]|, |v[2:3]|
	s_cbranch_scc0 .LBB1_29
; %bb.28:
	v_max_f64 v[4:5], |v[2:3]|, |v[2:3]|
	v_max_f64 v[6:7], |v[0:1]|, |v[0:1]|
	v_max_f64 v[8:9], v[6:7], v[4:5]
	v_min_f64 v[4:5], v[6:7], v[4:5]
	v_div_scale_f64 v[6:7], s[2:3], v[8:9], v[8:9], v[4:5]
	v_rcp_f64_e32 v[10:11], v[6:7]
	s_mov_b32 s2, 0xb5e68a13
	s_mov_b32 s3, 0x3eeba404
	s_brev_b32 s14, -2
	v_fma_f64 v[14:15], -v[6:7], v[10:11], 1.0
	v_fmac_f64_e32 v[10:11], v[10:11], v[14:15]
	v_fma_f64 v[14:15], -v[6:7], v[10:11], 1.0
	v_fmac_f64_e32 v[10:11], v[10:11], v[14:15]
	v_div_scale_f64 v[14:15], vcc, v[4:5], v[8:9], v[4:5]
	v_mul_f64 v[16:17], v[14:15], v[10:11]
	v_fma_f64 v[6:7], -v[6:7], v[16:17], v[14:15]
	s_mov_b32 s8, 0x54442d18
	s_nop 0
	v_div_fmas_f64 v[6:7], v[6:7], v[10:11], v[16:17]
	v_div_fixup_f64 v[4:5], v[6:7], v[8:9], v[4:5]
	v_mul_f64 v[6:7], v[4:5], v[4:5]
	v_mov_b32_e32 v8, 0xbd3237f4
	v_mov_b32_e32 v9, 0xbf23e260
	v_fmac_f64_e32 v[8:9], s[2:3], v[6:7]
	v_mov_b32_e32 v10, 0x69efb384
	v_mov_b32_e32 v11, 0x3f4b2bb0
	v_fmac_f64_e32 v[10:11], v[6:7], v[8:9]
	;; [unrolled: 3-line block ×19, first 2 shown]
	v_mul_f64 v[6:7], v[6:7], v[8:9]
	v_fmac_f64_e32 v[4:5], v[4:5], v[6:7]
	v_mov_b32_e32 v6, 0x54442d18
	v_mov_b32_e32 v7, 0x7f3321d2
	v_cmp_gt_i32_e32 vcc, 0, v1
	v_cndmask_b32_e32 v8, v6, v7, vcc
	v_mov_b32_e32 v6, 0x3fe921fb
	v_mov_b32_e32 v7, 0x4002d97c
	v_cndmask_b32_e32 v6, v6, v7, vcc
	v_bfi_b32 v9, s14, v6, v3
	v_ashrrev_i32_e32 v6, 31, v1
	s_mov_b32 s9, 0x3ff921fb
	s_mov_b32 s15, 0x400921fb
	v_and_b32_e32 v10, 0x400921fb, v6
	v_and_b32_e32 v11, 0x54442d18, v6
	v_add_f64 v[6:7], -v[4:5], s[8:9]
	v_cndmask_b32_e64 v5, v5, v7, s[0:1]
	v_cndmask_b32_e64 v4, v4, v6, s[0:1]
	s_mov_b32 s9, s15
	s_movk_i32 s2, 0x204
	v_add_f64 v[6:7], -v[4:5], s[8:9]
	v_cmp_class_f64_e64 s[4:5], v[2:3], s2
	v_cmp_class_f64_e64 s[6:7], v[0:1], s2
	v_cndmask_b32_e32 v5, v5, v7, vcc
	v_cndmask_b32_e32 v4, v4, v6, vcc
	v_cmp_eq_f64_e32 vcc, 0, v[2:3]
	v_cndmask_b32_e32 v4, v4, v11, vcc
	v_cndmask_b32_e32 v5, v5, v10, vcc
	s_and_b64 vcc, s[6:7], s[4:5]
	v_cndmask_b32_e32 v5, v5, v9, vcc
	v_cndmask_b32_e32 v4, v4, v8, vcc
	v_cmp_o_f64_e32 vcc, v[0:1], v[2:3]
	v_mov_b32_e32 v6, 0x7ff80000
	v_cndmask_b32_e32 v5, v6, v5, vcc
	s_mov_b64 s[2:3], 0
	v_cndmask_b32_e32 v4, 0, v4, vcc
	v_bfi_b32 v5, s14, v5, v3
	s_cbranch_execz .LBB1_30
	s_branch .LBB1_33
.LBB1_29:
	s_mov_b64 s[2:3], -1
                                        ; implicit-def: $vgpr4_vgpr5
.LBB1_30:
	v_and_b32_e32 v4, 0x7fffffff, v1
	v_and_b32_e32 v5, 0x7fffffff, v3
	v_cmp_lt_f64_e64 vcc, |v[0:1]|, |v[2:3]|
	v_cndmask_b32_e32 v5, v4, v5, vcc
	v_cndmask_b32_e32 v4, v0, v2, vcc
	s_mov_b64 s[2:3], 0
	v_cmp_neq_f64_e32 vcc, 0, v[4:5]
	s_and_saveexec_b64 s[0:1], vcc
	s_cbranch_execz .LBB1_32
; %bb.31:
	v_div_scale_f64 v[6:7], s[4:5], v[4:5], v[4:5], v[0:1]
	v_rcp_f64_e32 v[8:9], v[6:7]
	v_div_scale_f64 v[10:11], vcc, v[0:1], v[4:5], v[0:1]
	v_fma_f64 v[14:15], -v[6:7], v[8:9], 1.0
	v_fmac_f64_e32 v[8:9], v[8:9], v[14:15]
	v_fma_f64 v[14:15], -v[6:7], v[8:9], 1.0
	v_fmac_f64_e32 v[8:9], v[8:9], v[14:15]
	v_mul_f64 v[14:15], v[10:11], v[8:9]
	v_fma_f64 v[6:7], -v[6:7], v[14:15], v[10:11]
	v_div_scale_f64 v[10:11], s[4:5], v[4:5], v[4:5], v[2:3]
	v_rcp_f64_e32 v[16:17], v[10:11]
	v_div_fmas_f64 v[6:7], v[6:7], v[8:9], v[14:15]
	v_div_fixup_f64 v[6:7], v[6:7], v[4:5], v[0:1]
	s_mov_b32 s4, 0
	v_fma_f64 v[8:9], -v[10:11], v[16:17], 1.0
	v_fmac_f64_e32 v[16:17], v[16:17], v[8:9]
	v_fma_f64 v[8:9], -v[10:11], v[16:17], 1.0
	v_fmac_f64_e32 v[16:17], v[16:17], v[8:9]
	v_div_scale_f64 v[8:9], vcc, v[2:3], v[4:5], v[2:3]
	v_mul_f64 v[14:15], v[8:9], v[16:17]
	v_fma_f64 v[8:9], -v[10:11], v[14:15], v[8:9]
	s_brev_b32 s5, 8
	s_nop 0
	v_div_fmas_f64 v[8:9], v[8:9], v[16:17], v[14:15]
	v_div_fixup_f64 v[8:9], v[8:9], v[4:5], v[2:3]
	v_mul_f64 v[8:9], v[8:9], v[8:9]
	v_fmac_f64_e32 v[8:9], v[6:7], v[6:7]
	v_cmp_gt_f64_e32 vcc, s[4:5], v[8:9]
	v_cndmask_b32_e64 v6, 0, 1, vcc
	v_lshlrev_b32_e32 v6, 8, v6
	v_ldexp_f64 v[6:7], v[8:9], v6
	v_rsq_f64_e32 v[8:9], v[6:7]
	v_mul_f64 v[10:11], v[6:7], v[8:9]
	v_mul_f64 v[8:9], v[8:9], 0.5
	v_fma_f64 v[14:15], -v[8:9], v[10:11], 0.5
	v_fmac_f64_e32 v[10:11], v[10:11], v[14:15]
	v_fma_f64 v[16:17], -v[10:11], v[10:11], v[6:7]
	v_fmac_f64_e32 v[8:9], v[8:9], v[14:15]
	v_fmac_f64_e32 v[10:11], v[16:17], v[8:9]
	v_fma_f64 v[14:15], -v[10:11], v[10:11], v[6:7]
	v_fmac_f64_e32 v[10:11], v[14:15], v[8:9]
	v_mov_b32_e32 v8, 0xffffff80
	v_cndmask_b32_e32 v8, 0, v8, vcc
	v_ldexp_f64 v[8:9], v[10:11], v8
	v_mov_b32_e32 v10, 0x260
	v_cmp_class_f64_e32 vcc, v[6:7], v10
	v_cndmask_b32_e32 v7, v9, v7, vcc
	v_cndmask_b32_e32 v6, v8, v6, vcc
	v_mul_f64 v[4:5], v[4:5], v[6:7]
.LBB1_32:
	s_or_b64 exec, exec, s[0:1]
.LBB1_33:
	v_pk_mov_b32 v[6:7], s[2:3], s[2:3] op_sel:[0,1]
.LBB1_34:
	s_cbranch_execnz .LBB1_80
.LBB1_35:
	v_mov_b32_e32 v5, s11
	v_add_co_u32_e32 v4, vcc, s10, v12
	v_addc_co_u32_e32 v5, vcc, v5, v13, vcc
	global_load_dwordx4 v[8:11], v[4:5], off
	s_cmp_lt_i32 s26, 2
	s_cbranch_scc1 .LBB1_52
; %bb.36:
	s_cmp_gt_i32 s26, 2
	s_cbranch_scc0 .LBB1_53
; %bb.37:
	s_waitcnt vmcnt(0)
	v_max_f64 v[4:5], |v[10:11]|, |v[10:11]|
	v_max_f64 v[6:7], |v[8:9]|, |v[8:9]|
	v_max_f64 v[4:5], v[6:7], v[4:5]
	v_frexp_exp_i32_f64_e32 v6, v[4:5]
	s_mov_b32 s0, 0
	v_add_u32_e32 v6, -1, v6
	s_mov_b32 s1, 0x7ff00000
	v_cvt_f64_i32_e32 v[6:7], v6
	v_cmp_lg_f64_e32 vcc, s[0:1], v[4:5]
	v_cndmask_b32_e32 v7, v5, v7, vcc
	v_cndmask_b32_e32 v6, v4, v6, vcc
	v_mov_b32_e32 v14, 0xfff00000
	v_cmp_eq_f64_e32 vcc, 0, v[4:5]
	v_cndmask_b32_e32 v19, v7, v14, vcc
	v_cndmask_b32_e64 v18, v6, 0, vcc
	v_and_b32_e32 v4, 0x7fffffff, v7
	v_mov_b32_e32 v5, 0x7ff00000
	v_cvt_i32_f64_e32 v26, v[18:19]
	v_cndmask_b32_e32 v21, v4, v5, vcc
	v_mov_b32_e32 v20, v18
	v_sub_u32_e32 v6, 0, v26
	v_ldexp_f64 v[4:5], v[8:9], v6
	v_ldexp_f64 v[6:7], v[10:11], v6
	v_cmp_lg_f64_e32 vcc, s[0:1], v[20:21]
	v_cndmask_b32_e32 v15, v11, v7, vcc
	v_cndmask_b32_e32 v14, v10, v6, vcc
	;; [unrolled: 1-line block ×4, first 2 shown]
	v_mul_f64 v[22:23], v[14:15], v[14:15]
	v_mul_f64 v[4:5], v[2:3], v[14:15]
	v_fmac_f64_e32 v[22:23], v[16:17], v[16:17]
	v_fmac_f64_e32 v[4:5], v[0:1], v[16:17]
	v_div_scale_f64 v[6:7], s[0:1], v[22:23], v[22:23], v[4:5]
	v_rcp_f64_e32 v[24:25], v[6:7]
	v_cndmask_b32_e32 v30, 0, v26, vcc
	v_sub_u32_e32 v32, 0, v30
	s_mov_b64 s[6:7], 0
	v_fma_f64 v[26:27], -v[6:7], v[24:25], 1.0
	v_fmac_f64_e32 v[24:25], v[24:25], v[26:27]
	v_fma_f64 v[26:27], -v[6:7], v[24:25], 1.0
	v_fmac_f64_e32 v[24:25], v[24:25], v[26:27]
	v_div_scale_f64 v[26:27], vcc, v[4:5], v[22:23], v[4:5]
	v_mul_f64 v[28:29], v[26:27], v[24:25]
	v_fma_f64 v[6:7], -v[6:7], v[28:29], v[26:27]
	s_nop 1
	v_div_fmas_f64 v[6:7], v[6:7], v[24:25], v[28:29]
	v_mul_f64 v[24:25], v[0:1], v[14:15]
	v_fma_f64 v[24:25], v[2:3], v[16:17], -v[24:25]
	v_div_scale_f64 v[26:27], s[0:1], v[22:23], v[22:23], v[24:25]
	v_rcp_f64_e32 v[28:29], v[26:27]
	v_div_fixup_f64 v[4:5], v[6:7], v[22:23], v[4:5]
	v_ldexp_f64 v[4:5], v[4:5], v32
	v_fma_f64 v[6:7], -v[26:27], v[28:29], 1.0
	v_fmac_f64_e32 v[28:29], v[28:29], v[6:7]
	v_fma_f64 v[6:7], -v[26:27], v[28:29], 1.0
	v_fmac_f64_e32 v[28:29], v[28:29], v[6:7]
	v_div_scale_f64 v[6:7], vcc, v[24:25], v[22:23], v[24:25]
	v_mul_f64 v[30:31], v[6:7], v[28:29]
	v_fma_f64 v[6:7], -v[26:27], v[30:31], v[6:7]
	s_nop 1
	v_div_fmas_f64 v[6:7], v[6:7], v[28:29], v[30:31]
	v_div_fixup_f64 v[6:7], v[6:7], v[22:23], v[24:25]
	v_ldexp_f64 v[6:7], v[6:7], v32
	v_cmp_u_f64_e32 vcc, v[4:5], v[4:5]
	v_cmp_u_f64_e64 s[0:1], v[6:7], v[6:7]
	s_and_b64 s[0:1], vcc, s[0:1]
	s_and_saveexec_b64 s[8:9], s[0:1]
	s_cbranch_execz .LBB1_51
; %bb.38:
	v_cmp_neq_f64_e64 s[2:3], 0, v[22:23]
	v_cmp_eq_f64_e32 vcc, 0, v[22:23]
                                        ; implicit-def: $vgpr22_vgpr23
                                        ; implicit-def: $vgpr24_vgpr25
	s_and_saveexec_b64 s[4:5], vcc
	s_cbranch_execz .LBB1_42
; %bb.39:
	v_cmp_o_f64_e32 vcc, v[0:1], v[0:1]
	v_cmp_o_f64_e64 s[0:1], v[2:3], v[2:3]
	s_or_b64 s[14:15], vcc, s[0:1]
	s_mov_b64 s[10:11], -1
                                        ; implicit-def: $vgpr22_vgpr23
                                        ; implicit-def: $vgpr24_vgpr25
	s_and_saveexec_b64 s[0:1], s[14:15]
; %bb.40:
	s_brev_b32 s10, -2
	v_mov_b32_e32 v22, 0x7ff00000
	v_bfi_b32 v23, s10, v22, v17
	v_mov_b32_e32 v22, 0
	v_mul_f64 v[24:25], v[0:1], v[22:23]
	v_mul_f64 v[22:23], v[2:3], v[22:23]
	s_xor_b64 s[10:11], exec, -1
; %bb.41:
	s_or_b64 exec, exec, s[0:1]
	s_andn2_b64 s[0:1], s[2:3], exec
	s_and_b64 s[2:3], s[10:11], exec
	s_or_b64 s[2:3], s[0:1], s[2:3]
.LBB1_42:
	s_or_b64 exec, exec, s[4:5]
	s_and_saveexec_b64 s[10:11], s[2:3]
	s_cbranch_execz .LBB1_50
; %bb.43:
	s_movk_i32 s2, 0x204
	v_cmp_class_f64_e64 s[0:1], v[0:1], s2
	v_cmp_class_f64_e64 vcc, v[2:3], s2
	s_mov_b32 s16, 0
	s_or_b64 s[2:3], s[0:1], vcc
	v_and_b32_e32 v23, 0x7fffffff, v17
	v_mov_b32_e32 v22, v16
	s_mov_b32 s17, 0x7ff00000
	s_xor_b64 s[4:5], s[2:3], -1
	v_cmp_nlg_f64_e64 s[2:3], s[16:17], v[22:23]
	v_and_b32_e32 v23, 0x7fffffff, v15
	v_mov_b32_e32 v22, v14
	s_or_b64 s[4:5], s[4:5], s[2:3]
	v_cmp_nlg_f64_e64 s[2:3], s[16:17], v[22:23]
	s_or_b64 s[2:3], s[4:5], s[2:3]
	s_and_saveexec_b64 s[4:5], s[2:3]
	s_xor_b64 s[14:15], exec, s[4:5]
	s_cbranch_execz .LBB1_47
; %bb.44:
	v_cmp_eq_f64_e64 s[2:3], s[16:17], v[20:21]
	v_cmp_lt_f64_e64 s[4:5], 0, v[18:19]
	s_and_b64 s[2:3], s[4:5], s[2:3]
	s_movk_i32 s4, 0x1f8
	v_cmp_class_f64_e64 s[4:5], v[0:1], s4
	v_and_b32_e32 v19, 0x7fffffff, v3
	v_mov_b32_e32 v18, v2
	s_and_b64 s[4:5], s[4:5], s[2:3]
	v_cmp_lg_f64_e64 s[2:3], s[16:17], v[18:19]
	s_and_b64 s[2:3], s[4:5], s[2:3]
	s_and_saveexec_b64 s[4:5], s[2:3]
	s_cbranch_execz .LBB1_46
; %bb.45:
	s_movk_i32 s16, 0x204
	v_mov_b32_e32 v4, 0x3ff00000
	v_cmp_class_f64_e64 s[2:3], v[16:17], s16
	v_cndmask_b32_e64 v5, 0, v4, s[2:3]
	v_cmp_class_f64_e64 s[2:3], v[14:15], s16
	s_brev_b32 s17, -2
	v_mov_b32_e32 v6, 0
	v_cndmask_b32_e64 v4, 0, v4, s[2:3]
	v_bfi_b32 v15, s17, v4, v15
	v_mov_b32_e32 v14, v6
	v_bfi_b32 v7, s17, v5, v17
	v_mul_f64 v[4:5], v[2:3], v[14:15]
	v_mul_f64 v[14:15], v[0:1], v[14:15]
	v_fmac_f64_e32 v[4:5], v[0:1], v[6:7]
	v_fma_f64 v[6:7], v[2:3], v[6:7], -v[14:15]
	v_mul_f64 v[4:5], v[4:5], 0
	v_mul_f64 v[6:7], v[6:7], 0
.LBB1_46:
	s_or_b64 exec, exec, s[4:5]
                                        ; implicit-def: $vgpr14_vgpr15
                                        ; implicit-def: $vgpr16_vgpr17
.LBB1_47:
	s_andn2_saveexec_b64 s[2:3], s[14:15]
	s_cbranch_execz .LBB1_49
; %bb.48:
	v_mov_b32_e32 v4, 0x3ff00000
	v_cndmask_b32_e64 v5, 0, v4, s[0:1]
	s_brev_b32 s0, -2
	v_mov_b32_e32 v6, 0
	v_cndmask_b32_e32 v4, 0, v4, vcc
	v_bfi_b32 v19, s0, v4, v3
	v_mov_b32_e32 v18, v6
	v_bfi_b32 v7, s0, v5, v1
	v_mul_f64 v[4:5], v[18:19], v[14:15]
	v_fmac_f64_e32 v[4:5], v[6:7], v[16:17]
	s_mov_b32 s0, 0
	v_mul_f64 v[6:7], v[6:7], v[14:15]
	s_mov_b32 s1, 0x7ff00000
	v_fma_f64 v[6:7], v[18:19], v[16:17], -v[6:7]
	v_mul_f64 v[4:5], v[4:5], s[0:1]
	v_mul_f64 v[6:7], v[6:7], s[0:1]
.LBB1_49:
	s_or_b64 exec, exec, s[2:3]
	v_pk_mov_b32 v[22:23], v[6:7], v[6:7] op_sel:[0,1]
	v_pk_mov_b32 v[24:25], v[4:5], v[4:5] op_sel:[0,1]
.LBB1_50:
	s_or_b64 exec, exec, s[10:11]
	v_pk_mov_b32 v[6:7], v[22:23], v[22:23] op_sel:[0,1]
	v_pk_mov_b32 v[4:5], v[24:25], v[24:25] op_sel:[0,1]
.LBB1_51:
	s_or_b64 exec, exec, s[8:9]
	s_andn2_b64 vcc, exec, s[6:7]
	s_cbranch_vccz .LBB1_54
	s_branch .LBB1_73
.LBB1_52:
                                        ; implicit-def: $vgpr6_vgpr7
	s_branch .LBB1_74
.LBB1_53:
                                        ; implicit-def: $vgpr6_vgpr7
.LBB1_54:
	s_waitcnt vmcnt(0)
	v_mul_f64 v[24:25], v[2:3], v[10:11]
	v_mul_f64 v[22:23], v[0:1], v[10:11]
	v_fma_f64 v[4:5], v[0:1], v[8:9], -v[24:25]
	v_fma_f64 v[6:7], v[2:3], v[8:9], v[22:23]
	v_cmp_u_f64_e32 vcc, v[4:5], v[4:5]
	s_and_saveexec_b64 s[0:1], vcc
	s_cbranch_execz .LBB1_72
; %bb.55:
	v_cmp_u_f64_e32 vcc, v[6:7], v[6:7]
	s_and_saveexec_b64 s[2:3], vcc
	s_cbranch_execz .LBB1_71
; %bb.56:
	s_movk_i32 s10, 0x204
	v_cmp_class_f64_e64 s[8:9], v[0:1], s10
	v_cmp_class_f64_e64 s[6:7], v[2:3], s10
	s_or_b64 s[14:15], s[8:9], s[6:7]
	v_mov_b32_e32 v28, 0
	v_pk_mov_b32 v[20:21], v[10:11], v[10:11] op_sel:[0,1]
	v_pk_mov_b32 v[18:19], v[8:9], v[8:9] op_sel:[0,1]
	;; [unrolled: 1-line block ×4, first 2 shown]
	s_and_saveexec_b64 s[4:5], s[14:15]
	s_cbranch_execz .LBB1_60
; %bb.57:
	v_cndmask_b32_e64 v14, 0, 1, s[8:9]
	v_cndmask_b32_e64 v16, 0, 1, s[6:7]
	v_cvt_f64_u32_e32 v[14:15], v14
	s_brev_b32 s8, -2
	v_cvt_f64_u32_e32 v[16:17], v16
	v_and_b32_e32 v19, 0x80000000, v9
	v_cmp_u_f64_e32 vcc, v[8:9], v[8:9]
	v_bfi_b32 v15, s8, v15, v1
	v_bfi_b32 v17, s8, v17, v3
	v_cndmask_b32_e64 v18, v8, 0, vcc
	v_cndmask_b32_e32 v19, v9, v19, vcc
	v_cmp_u_f64_e32 vcc, v[10:11], v[10:11]
	v_pk_mov_b32 v[20:21], v[10:11], v[10:11] op_sel:[0,1]
	s_and_saveexec_b64 s[6:7], vcc
; %bb.58:
	v_mov_b32_e32 v20, 0
	v_bfi_b32 v21, s8, 0, v11
; %bb.59:
	s_or_b64 exec, exec, s[6:7]
	v_mov_b32_e32 v28, 1
.LBB1_60:
	s_or_b64 exec, exec, s[4:5]
	v_cmp_class_f64_e64 s[8:9], v[18:19], s10
	v_cmp_class_f64_e64 s[6:7], v[20:21], s10
	s_or_b64 s[10:11], s[6:7], s[8:9]
	s_and_saveexec_b64 s[4:5], s[10:11]
	s_cbranch_execz .LBB1_64
; %bb.61:
	v_cndmask_b32_e64 v18, 0, 1, s[8:9]
	v_cvt_f64_u32_e32 v[26:27], v18
	s_brev_b32 s8, -2
	v_cndmask_b32_e64 v18, 0, 1, s[6:7]
	v_bfi_b32 v27, s8, v27, v19
	v_cvt_f64_u32_e32 v[18:19], v18
	v_and_b32_e32 v20, 0x80000000, v15
	v_cmp_u_f64_e32 vcc, v[14:15], v[14:15]
	v_bfi_b32 v19, s8, v19, v21
	v_cndmask_b32_e64 v14, v14, 0, vcc
	v_cndmask_b32_e32 v15, v15, v20, vcc
	v_cmp_u_f64_e32 vcc, v[16:17], v[16:17]
	s_and_saveexec_b64 s[6:7], vcc
; %bb.62:
	v_mov_b32_e32 v16, 0
	v_bfi_b32 v17, s8, 0, v17
; %bb.63:
	s_or_b64 exec, exec, s[6:7]
	v_mov_b32_e32 v28, 1
	v_pk_mov_b32 v[20:21], v[18:19], v[18:19] op_sel:[0,1]
	v_pk_mov_b32 v[18:19], v[26:27], v[26:27] op_sel:[0,1]
.LBB1_64:
	s_or_b64 exec, exec, s[4:5]
	v_cmp_eq_u32_e32 vcc, 0, v28
	s_mov_b64 s[6:7], 0
	s_and_saveexec_b64 s[4:5], vcc
	s_cbranch_execz .LBB1_70
; %bb.65:
	v_mul_f64 v[26:27], v[0:1], v[8:9]
	s_movk_i32 s10, 0x204
	v_cmp_class_f64_e64 s[6:7], v[26:27], s10
	v_cmp_class_f64_e64 s[8:9], v[24:25], s10
	v_mul_f64 v[28:29], v[2:3], v[8:9]
	s_or_b64 s[6:7], s[6:7], s[8:9]
	v_cmp_class_f64_e64 s[8:9], v[22:23], s10
	s_or_b64 s[6:7], s[8:9], s[6:7]
	v_cmp_class_f64_e64 s[8:9], v[28:29], s10
	s_or_b64 s[10:11], s[8:9], s[6:7]
	s_mov_b64 s[8:9], -1
	s_and_saveexec_b64 s[6:7], s[10:11]
	s_cbranch_execz .LBB1_69
; %bb.66:
	v_and_b32_e32 v22, 0x80000000, v15
	v_cmp_u_f64_e32 vcc, v[14:15], v[14:15]
	v_cndmask_b32_e64 v14, v14, 0, vcc
	v_cndmask_b32_e32 v15, v15, v22, vcc
	v_and_b32_e32 v22, 0x80000000, v17
	v_cmp_u_f64_e32 vcc, v[16:17], v[16:17]
	v_cndmask_b32_e64 v16, v16, 0, vcc
	v_cndmask_b32_e32 v17, v17, v22, vcc
	;; [unrolled: 4-line block ×3, first 2 shown]
	v_cmp_u_f64_e32 vcc, v[20:21], v[20:21]
	s_and_saveexec_b64 s[8:9], vcc
; %bb.67:
	s_brev_b32 s10, -2
	v_mov_b32_e32 v20, 0
	v_bfi_b32 v21, s10, 0, v21
; %bb.68:
	s_or_b64 exec, exec, s[8:9]
	s_xor_b64 s[8:9], exec, -1
.LBB1_69:
	s_or_b64 exec, exec, s[6:7]
	s_and_b64 s[6:7], s[8:9], exec
.LBB1_70:
	s_or_b64 exec, exec, s[4:5]
	v_mul_f64 v[22:23], v[20:21], v[16:17]
	v_fma_f64 v[22:23], v[18:19], v[14:15], -v[22:23]
	s_mov_b32 s4, 0
	v_mul_f64 v[14:15], v[20:21], v[14:15]
	s_mov_b32 s5, 0x7ff00000
	v_fmac_f64_e32 v[14:15], v[18:19], v[16:17]
	v_mul_f64 v[22:23], v[22:23], s[4:5]
	v_mul_f64 v[14:15], v[14:15], s[4:5]
	v_cndmask_b32_e64 v7, v15, v7, s[6:7]
	v_cndmask_b32_e64 v6, v14, v6, s[6:7]
	;; [unrolled: 1-line block ×4, first 2 shown]
.LBB1_71:
	s_or_b64 exec, exec, s[2:3]
.LBB1_72:
	s_or_b64 exec, exec, s[0:1]
.LBB1_73:
	s_cbranch_execnz .LBB1_80
.LBB1_74:
	s_cmp_gt_i32 s26, 0
	s_cbranch_scc0 .LBB1_76
; %bb.75:
	s_waitcnt vmcnt(0)
	v_add_f64 v[4:5], v[0:1], -v[8:9]
	v_add_f64 v[6:7], v[2:3], -v[10:11]
	s_cbranch_execz .LBB1_77
	s_branch .LBB1_80
.LBB1_76:
                                        ; implicit-def: $vgpr6_vgpr7
.LBB1_77:
	s_cmp_lg_u32 s26, 0
	s_cbranch_scc1 .LBB1_79
; %bb.78:
	s_waitcnt vmcnt(0)
	v_add_f64 v[0:1], v[0:1], v[8:9]
	v_add_f64 v[2:3], v[2:3], v[10:11]
.LBB1_79:
	s_waitcnt vmcnt(1)
	v_pk_mov_b32 v[6:7], v[2:3], v[2:3] op_sel:[0,1]
	v_pk_mov_b32 v[4:5], v[0:1], v[0:1] op_sel:[0,1]
.LBB1_80:
	s_waitcnt vmcnt(0)
	v_mov_b32_e32 v1, s13
	v_add_co_u32_e32 v0, vcc, s12, v12
	v_addc_co_u32_e32 v1, vcc, v1, v13, vcc
	global_store_dwordx4 v[0:1], v[4:7], off
	s_endpgm
	.section	.rodata,"a",@progbits
	.p2align	6, 0x0
	.amdhsa_kernel _Z6kernelIdEvPSt7complexIT_ES3_S3_8CalcKind
		.amdhsa_group_segment_fixed_size 0
		.amdhsa_private_segment_fixed_size 0
		.amdhsa_kernarg_size 288
		.amdhsa_user_sgpr_count 6
		.amdhsa_user_sgpr_private_segment_buffer 1
		.amdhsa_user_sgpr_dispatch_ptr 0
		.amdhsa_user_sgpr_queue_ptr 0
		.amdhsa_user_sgpr_kernarg_segment_ptr 1
		.amdhsa_user_sgpr_dispatch_id 0
		.amdhsa_user_sgpr_flat_scratch_init 0
		.amdhsa_user_sgpr_kernarg_preload_length 0
		.amdhsa_user_sgpr_kernarg_preload_offset 0
		.amdhsa_user_sgpr_private_segment_size 0
		.amdhsa_uses_dynamic_stack 0
		.amdhsa_system_sgpr_private_segment_wavefront_offset 0
		.amdhsa_system_sgpr_workgroup_id_x 1
		.amdhsa_system_sgpr_workgroup_id_y 0
		.amdhsa_system_sgpr_workgroup_id_z 0
		.amdhsa_system_sgpr_workgroup_info 0
		.amdhsa_system_vgpr_workitem_id 0
		.amdhsa_next_free_vgpr 44
		.amdhsa_next_free_sgpr 30
		.amdhsa_accum_offset 44
		.amdhsa_reserve_vcc 1
		.amdhsa_reserve_flat_scratch 0
		.amdhsa_float_round_mode_32 0
		.amdhsa_float_round_mode_16_64 0
		.amdhsa_float_denorm_mode_32 3
		.amdhsa_float_denorm_mode_16_64 3
		.amdhsa_dx10_clamp 1
		.amdhsa_ieee_mode 1
		.amdhsa_fp16_overflow 0
		.amdhsa_tg_split 0
		.amdhsa_exception_fp_ieee_invalid_op 0
		.amdhsa_exception_fp_denorm_src 0
		.amdhsa_exception_fp_ieee_div_zero 0
		.amdhsa_exception_fp_ieee_overflow 0
		.amdhsa_exception_fp_ieee_underflow 0
		.amdhsa_exception_fp_ieee_inexact 0
		.amdhsa_exception_int_div_zero 0
	.end_amdhsa_kernel
	.section	.text._Z6kernelIdEvPSt7complexIT_ES3_S3_8CalcKind,"axG",@progbits,_Z6kernelIdEvPSt7complexIT_ES3_S3_8CalcKind,comdat
.Lfunc_end1:
	.size	_Z6kernelIdEvPSt7complexIT_ES3_S3_8CalcKind, .Lfunc_end1-_Z6kernelIdEvPSt7complexIT_ES3_S3_8CalcKind
                                        ; -- End function
	.section	.AMDGPU.csdata,"",@progbits
; Kernel info:
; codeLenInByte = 10508
; NumSgprs: 34
; NumVgprs: 44
; NumAgprs: 0
; TotalNumVgprs: 44
; ScratchSize: 0
; MemoryBound: 0
; FloatMode: 240
; IeeeMode: 1
; LDSByteSize: 0 bytes/workgroup (compile time only)
; SGPRBlocks: 4
; VGPRBlocks: 5
; NumSGPRsForWavesPerEU: 34
; NumVGPRsForWavesPerEU: 44
; AccumOffset: 44
; Occupancy: 8
; WaveLimiterHint : 0
; COMPUTE_PGM_RSRC2:SCRATCH_EN: 0
; COMPUTE_PGM_RSRC2:USER_SGPR: 6
; COMPUTE_PGM_RSRC2:TRAP_HANDLER: 0
; COMPUTE_PGM_RSRC2:TGID_X_EN: 1
; COMPUTE_PGM_RSRC2:TGID_Y_EN: 0
; COMPUTE_PGM_RSRC2:TGID_Z_EN: 0
; COMPUTE_PGM_RSRC2:TIDIG_COMP_CNT: 0
; COMPUTE_PGM_RSRC3_GFX90A:ACCUM_OFFSET: 10
; COMPUTE_PGM_RSRC3_GFX90A:TG_SPLIT: 0
	.text
	.p2alignl 6, 3212836864
	.fill 256, 4, 3212836864
	.type	__hip_cuid_c64a05ee5aecbed5,@object ; @__hip_cuid_c64a05ee5aecbed5
	.section	.bss,"aw",@nobits
	.globl	__hip_cuid_c64a05ee5aecbed5
__hip_cuid_c64a05ee5aecbed5:
	.byte	0                               ; 0x0
	.size	__hip_cuid_c64a05ee5aecbed5, 1

	.ident	"AMD clang version 19.0.0git (https://github.com/RadeonOpenCompute/llvm-project roc-6.4.0 25133 c7fe45cf4b819c5991fe208aaa96edf142730f1d)"
	.section	".note.GNU-stack","",@progbits
	.addrsig
	.addrsig_sym __hip_cuid_c64a05ee5aecbed5
	.amdgpu_metadata
---
amdhsa.kernels:
  - .agpr_count:     0
    .args:
      - .address_space:  global
        .offset:         0
        .size:           8
        .value_kind:     global_buffer
      - .address_space:  global
        .offset:         8
        .size:           8
        .value_kind:     global_buffer
      - .address_space:  global
        .offset:         16
        .size:           8
        .value_kind:     global_buffer
      - .offset:         24
        .size:           4
        .value_kind:     by_value
      - .offset:         32
        .size:           4
        .value_kind:     hidden_block_count_x
      - .offset:         36
        .size:           4
        .value_kind:     hidden_block_count_y
      - .offset:         40
        .size:           4
        .value_kind:     hidden_block_count_z
      - .offset:         44
        .size:           2
        .value_kind:     hidden_group_size_x
      - .offset:         46
        .size:           2
        .value_kind:     hidden_group_size_y
      - .offset:         48
        .size:           2
        .value_kind:     hidden_group_size_z
      - .offset:         50
        .size:           2
        .value_kind:     hidden_remainder_x
      - .offset:         52
        .size:           2
        .value_kind:     hidden_remainder_y
      - .offset:         54
        .size:           2
        .value_kind:     hidden_remainder_z
      - .offset:         72
        .size:           8
        .value_kind:     hidden_global_offset_x
      - .offset:         80
        .size:           8
        .value_kind:     hidden_global_offset_y
      - .offset:         88
        .size:           8
        .value_kind:     hidden_global_offset_z
      - .offset:         96
        .size:           2
        .value_kind:     hidden_grid_dims
    .group_segment_fixed_size: 0
    .kernarg_segment_align: 8
    .kernarg_segment_size: 288
    .language:       OpenCL C
    .language_version:
      - 2
      - 0
    .max_flat_workgroup_size: 1024
    .name:           _Z6kernelIfEvPSt7complexIT_ES3_S3_8CalcKind
    .private_segment_fixed_size: 0
    .sgpr_count:     24
    .sgpr_spill_count: 0
    .symbol:         _Z6kernelIfEvPSt7complexIT_ES3_S3_8CalcKind.kd
    .uniform_work_group_size: 1
    .uses_dynamic_stack: false
    .vgpr_count:     27
    .vgpr_spill_count: 0
    .wavefront_size: 64
  - .agpr_count:     0
    .args:
      - .address_space:  global
        .offset:         0
        .size:           8
        .value_kind:     global_buffer
      - .address_space:  global
        .offset:         8
        .size:           8
        .value_kind:     global_buffer
      - .address_space:  global
        .offset:         16
        .size:           8
        .value_kind:     global_buffer
      - .offset:         24
        .size:           4
        .value_kind:     by_value
      - .offset:         32
        .size:           4
        .value_kind:     hidden_block_count_x
      - .offset:         36
        .size:           4
        .value_kind:     hidden_block_count_y
      - .offset:         40
        .size:           4
        .value_kind:     hidden_block_count_z
      - .offset:         44
        .size:           2
        .value_kind:     hidden_group_size_x
      - .offset:         46
        .size:           2
        .value_kind:     hidden_group_size_y
      - .offset:         48
        .size:           2
        .value_kind:     hidden_group_size_z
      - .offset:         50
        .size:           2
        .value_kind:     hidden_remainder_x
      - .offset:         52
        .size:           2
        .value_kind:     hidden_remainder_y
      - .offset:         54
        .size:           2
        .value_kind:     hidden_remainder_z
      - .offset:         72
        .size:           8
        .value_kind:     hidden_global_offset_x
      - .offset:         80
        .size:           8
        .value_kind:     hidden_global_offset_y
      - .offset:         88
        .size:           8
        .value_kind:     hidden_global_offset_z
      - .offset:         96
        .size:           2
        .value_kind:     hidden_grid_dims
    .group_segment_fixed_size: 0
    .kernarg_segment_align: 8
    .kernarg_segment_size: 288
    .language:       OpenCL C
    .language_version:
      - 2
      - 0
    .max_flat_workgroup_size: 1024
    .name:           _Z6kernelIdEvPSt7complexIT_ES3_S3_8CalcKind
    .private_segment_fixed_size: 0
    .sgpr_count:     34
    .sgpr_spill_count: 0
    .symbol:         _Z6kernelIdEvPSt7complexIT_ES3_S3_8CalcKind.kd
    .uniform_work_group_size: 1
    .uses_dynamic_stack: false
    .vgpr_count:     44
    .vgpr_spill_count: 0
    .wavefront_size: 64
amdhsa.target:   amdgcn-amd-amdhsa--gfx90a
amdhsa.version:
  - 1
  - 2
...

	.end_amdgpu_metadata
